;; amdgpu-corpus repo=ROCm/rocSPARSE kind=compiled arch=gfx950 opt=O3
	.amdgcn_target "amdgcn-amd-amdhsa--gfx950"
	.amdhsa_code_object_version 6
	.section	.text._ZN9rocsparseL31gebsrmm_general_blockdim_kernelILi32ELi32EfEEv20rocsparse_direction_20rocsparse_operation_iiNS_24const_host_device_scalarIT1_EEPKiS7_PKS4_iiS9_lS5_PS4_l21rocsparse_index_base_b,"axG",@progbits,_ZN9rocsparseL31gebsrmm_general_blockdim_kernelILi32ELi32EfEEv20rocsparse_direction_20rocsparse_operation_iiNS_24const_host_device_scalarIT1_EEPKiS7_PKS4_iiS9_lS5_PS4_l21rocsparse_index_base_b,comdat
	.globl	_ZN9rocsparseL31gebsrmm_general_blockdim_kernelILi32ELi32EfEEv20rocsparse_direction_20rocsparse_operation_iiNS_24const_host_device_scalarIT1_EEPKiS7_PKS4_iiS9_lS5_PS4_l21rocsparse_index_base_b ; -- Begin function _ZN9rocsparseL31gebsrmm_general_blockdim_kernelILi32ELi32EfEEv20rocsparse_direction_20rocsparse_operation_iiNS_24const_host_device_scalarIT1_EEPKiS7_PKS4_iiS9_lS5_PS4_l21rocsparse_index_base_b
	.p2align	8
	.type	_ZN9rocsparseL31gebsrmm_general_blockdim_kernelILi32ELi32EfEEv20rocsparse_direction_20rocsparse_operation_iiNS_24const_host_device_scalarIT1_EEPKiS7_PKS4_iiS9_lS5_PS4_l21rocsparse_index_base_b,@function
_ZN9rocsparseL31gebsrmm_general_blockdim_kernelILi32ELi32EfEEv20rocsparse_direction_20rocsparse_operation_iiNS_24const_host_device_scalarIT1_EEPKiS7_PKS4_iiS9_lS5_PS4_l21rocsparse_index_base_b: ; @_ZN9rocsparseL31gebsrmm_general_blockdim_kernelILi32ELi32EfEEv20rocsparse_direction_20rocsparse_operation_iiNS_24const_host_device_scalarIT1_EEPKiS7_PKS4_iiS9_lS5_PS4_l21rocsparse_index_base_b
; %bb.0:
	s_load_dwordx2 s[16:17], s[0:1], 0x60
	s_load_dwordx2 s[18:19], s[0:1], 0x10
	s_load_dwordx4 s[8:11], s[0:1], 0x40
	s_waitcnt lgkmcnt(0)
	s_bitcmp1_b32 s17, 0
	s_cselect_b64 s[6:7], -1, 0
	s_xor_b64 s[4:5], s[6:7], -1
	s_and_b64 vcc, exec, s[6:7]
	s_cbranch_vccnz .LBB0_2
; %bb.1:
	s_load_dword s18, s[18:19], 0x0
.LBB0_2:
	s_andn2_b64 vcc, exec, s[4:5]
	s_cbranch_vccnz .LBB0_4
; %bb.3:
	s_load_dword s10, s[10:11], 0x0
.LBB0_4:
	s_waitcnt lgkmcnt(0)
	v_cmp_eq_f32_e64 s[4:5], s18, 0
	v_cmp_eq_f32_e64 s[6:7], s10, 1.0
	s_and_b64 s[4:5], s[4:5], s[6:7]
	s_mov_b32 s11, 0
	s_and_b64 vcc, exec, s[4:5]
	s_cbranch_vccnz .LBB0_47
; %bb.5:
	s_load_dwordx4 s[4:7], s[0:1], 0x0
	s_mov_b32 s17, 0
	s_waitcnt lgkmcnt(0)
	s_cmp_lt_i32 s2, s6
	s_cselect_b64 s[26:27], -1, 0
	s_cmp_ge_i32 s2, s6
	s_cbranch_scc1 .LBB0_7
; %bb.6:
	s_load_dwordx2 s[12:13], s[0:1], 0x18
	s_mov_b32 s6, s3
	s_ashr_i32 s3, s2, 31
	s_lshl_b64 s[14:15], s[2:3], 2
	s_mov_b32 s3, s6
	s_waitcnt lgkmcnt(0)
	s_add_u32 s12, s12, s14
	s_addc_u32 s13, s13, s15
	s_load_dwordx2 s[14:15], s[12:13], 0x0
	s_waitcnt lgkmcnt(0)
	s_sub_i32 s11, s14, s16
	s_sub_i32 s17, s15, s16
.LBB0_7:
	s_load_dwordx2 s[20:21], s[0:1], 0x30
	s_waitcnt lgkmcnt(0)
	s_cmp_lt_i32 s20, 1
	s_cbranch_scc1 .LBB0_47
; %bb.8:
	s_load_dwordx4 s[36:39], s[0:1], 0x50
	s_load_dwordx4 s[12:15], s[0:1], 0x20
	s_load_dwordx2 s[24:25], s[0:1], 0x38
	v_and_b32_e32 v1, 0x3ff, v0
	v_bfe_u32 v0, v0, 10, 10
	v_lshl_add_u32 v4, s3, 5, v0
	v_ashrrev_i32_e32 v5, 31, v4
	s_cmp_lt_i32 s11, s17
	s_waitcnt lgkmcnt(0)
	v_mul_lo_u32 v2, s38, v5
	v_mul_lo_u32 v3, s39, v4
	v_mad_u64_u32 v[6:7], s[0:1], s38, v4, 0
	s_mul_i32 s19, s20, s2
	s_cselect_b64 s[2:3], -1, 0
	s_cmp_gt_i32 s21, 0
	v_add3_u32 v7, v7, v2, v3
	v_mul_lo_u32 v2, s8, v5
	v_mul_lo_u32 v3, s9, v4
	v_mad_u64_u32 v[8:9], s[0:1], s8, v4, 0
	s_cselect_b64 s[30:31], -1, 0
	s_cmpk_lg_i32 s5, 0x6f
	v_add3_u32 v9, v9, v2, v3
	s_cselect_b64 s[22:23], -1, 0
	s_cmp_lg_u32 s4, 0
	s_mul_i32 s4, s11, s20
	v_lshl_add_u64 v[2:3], v[4:5], 2, s[24:25]
	v_cmp_gt_i32_e64 s[0:1], s7, v4
	v_lshl_add_u64 v[4:5], v[8:9], 2, s[24:25]
	v_add_u32_e32 v8, s4, v1
	v_mad_u64_u32 v[8:9], s[4:5], s21, v8, v[0:1]
	v_lshlrev_b32_e32 v14, 2, v1
	v_cndmask_b32_e64 v9, 0, 1, s[2:3]
	v_or_b32_e32 v10, 0x1000, v14
	v_lshlrev_b32_e32 v15, 7, v0
	v_cmp_ne_u32_e64 s[2:3], 1, v9
	v_cndmask_b32_e64 v9, 0, 1, s[30:31]
	s_mov_b32 s33, 0
	s_cselect_b64 s[24:25], -1, 0
	s_and_b64 s[26:27], s[26:27], s[0:1]
	v_cmp_neq_f32_e64 s[28:29], s10, 0
	v_lshl_add_u64 v[6:7], v[6:7], 2, s[36:37]
	s_lshl_b32 s42, s21, 5
	s_mul_i32 s43, s21, s20
	v_cmp_ne_u32_e64 s[4:5], 1, v9
	v_add_u32_e32 v9, v10, v15
	v_add_u32_e32 v16, v14, v15
	;; [unrolled: 1-line block ×5, first 2 shown]
	s_branch .LBB0_10
.LBB0_9:                                ;   in Loop: Header=BB0_10 Depth=1
	s_or_b64 exec, exec, s[6:7]
	s_add_i32 s33, s33, 32
	s_cmp_lt_i32 s33, s20
	v_add_u32_e32 v8, s42, v8
	s_cbranch_scc0 .LBB0_47
.LBB0_10:                               ; =>This Loop Header: Depth=1
                                        ;     Child Loop BB0_13 Depth 2
                                        ;       Child Loop BB0_16 Depth 3
	v_add_u32_e32 v10, s33, v1
	v_mov_b32_e32 v20, 0
	s_and_b64 vcc, exec, s[2:3]
	v_cmp_gt_i32_e64 s[6:7], s20, v10
	s_cbranch_vccnz .LBB0_42
; %bb.11:                               ;   in Loop: Header=BB0_10 Depth=1
	v_mov_b32_e32 v20, 0
	v_mov_b32_e32 v11, v8
	s_mov_b32 s30, s11
	s_branch .LBB0_13
.LBB0_12:                               ;   in Loop: Header=BB0_13 Depth=2
	s_add_i32 s30, s30, 1
	s_cmp_ge_i32 s30, s17
	v_add_u32_e32 v11, s43, v11
	s_cbranch_scc1 .LBB0_42
.LBB0_13:                               ;   Parent Loop BB0_10 Depth=1
                                        ; =>  This Loop Header: Depth=2
                                        ;       Child Loop BB0_16 Depth 3
	s_and_b64 vcc, exec, s[4:5]
	s_cbranch_vccnz .LBB0_12
; %bb.14:                               ;   in Loop: Header=BB0_13 Depth=2
	s_ashr_i32 s31, s30, 31
	s_lshl_b64 s[34:35], s[30:31], 2
	s_add_u32 s34, s12, s34
	s_addc_u32 s35, s13, s35
	s_load_dword s34, s[34:35], 0x0
	s_mul_i32 s31, s30, s21
	s_mov_b32 s44, 0
	s_waitcnt lgkmcnt(0)
	s_sub_i32 s34, s34, s16
	s_mul_i32 s34, s34, s21
	v_add_u32_e32 v21, s34, v1
	s_branch .LBB0_16
.LBB0_15:                               ;   in Loop: Header=BB0_16 Depth=3
	s_or_b64 exec, exec, s[36:37]
	s_waitcnt vmcnt(0)
	ds_write_b32 v16, v13
	s_waitcnt lgkmcnt(0)
	s_barrier
	ds_read2_b32 v[12:13], v14 offset1:32
	ds_read_b128 v[22:25], v15 offset:4096
	ds_read_b128 v[26:29], v15 offset:4112
	ds_read2_b32 v[38:39], v14 offset0:64 offset1:96
	ds_read_b128 v[30:33], v15 offset:4128
	ds_read_b128 v[34:37], v15 offset:4144
	ds_read2_b32 v[40:41], v14 offset0:128 offset1:160
	s_waitcnt lgkmcnt(5)
	v_fmac_f32_e32 v20, v12, v22
	v_fmac_f32_e32 v20, v13, v23
	ds_read2_b32 v[12:13], v14 offset0:192 offset1:224
	s_waitcnt lgkmcnt(4)
	v_fmac_f32_e32 v20, v38, v24
	v_fmac_f32_e32 v20, v39, v25
	ds_read2_b32 v[22:23], v17 offset1:32
	s_waitcnt lgkmcnt(2)
	v_fmac_f32_e32 v20, v40, v26
	v_fmac_f32_e32 v20, v41, v27
	ds_read2_b32 v[24:25], v17 offset0:64 offset1:96
	s_waitcnt lgkmcnt(2)
	v_fmac_f32_e32 v20, v12, v28
	v_fmac_f32_e32 v20, v13, v29
	ds_read2_b32 v[12:13], v17 offset0:128 offset1:160
	s_waitcnt lgkmcnt(2)
	v_fmac_f32_e32 v20, v22, v30
	v_fmac_f32_e32 v20, v23, v31
	s_waitcnt lgkmcnt(1)
	v_fmac_f32_e32 v20, v24, v32
	ds_read2_b32 v[26:27], v17 offset0:192 offset1:224
	v_fmac_f32_e32 v20, v25, v33
	s_waitcnt lgkmcnt(1)
	v_fmac_f32_e32 v20, v12, v34
	v_fmac_f32_e32 v20, v13, v35
	ds_read2_b32 v[12:13], v18 offset1:32
	ds_read_b128 v[22:25], v15 offset:4160
	s_waitcnt lgkmcnt(2)
	v_fmac_f32_e32 v20, v26, v36
	v_fmac_f32_e32 v20, v27, v37
	ds_read2_b32 v[30:31], v18 offset0:64 offset1:96
	ds_read_b128 v[26:29], v15 offset:4176
	ds_read2_b32 v[32:33], v18 offset0:128 offset1:160
	s_waitcnt lgkmcnt(3)
	v_fmac_f32_e32 v20, v12, v22
	v_fmac_f32_e32 v20, v13, v23
	ds_read2_b32 v[12:13], v18 offset0:192 offset1:224
	s_waitcnt lgkmcnt(3)
	v_fmac_f32_e32 v20, v30, v24
	v_fmac_f32_e32 v20, v31, v25
	s_waitcnt lgkmcnt(1)
	v_fmac_f32_e32 v20, v32, v26
	ds_read2_b32 v[30:31], v19 offset1:32
	ds_read_b128 v[22:25], v15 offset:4192
	v_fmac_f32_e32 v20, v33, v27
	s_waitcnt lgkmcnt(2)
	v_fmac_f32_e32 v20, v12, v28
	v_fmac_f32_e32 v20, v13, v29
	ds_read2_b32 v[12:13], v19 offset0:64 offset1:96
	ds_read_b128 v[26:29], v15 offset:4208
	ds_read2_b32 v[32:33], v19 offset0:128 offset1:160
	s_waitcnt lgkmcnt(3)
	v_fmac_f32_e32 v20, v30, v22
	v_fmac_f32_e32 v20, v31, v23
	ds_read2_b32 v[22:23], v19 offset0:192 offset1:224
	s_waitcnt lgkmcnt(3)
	v_fmac_f32_e32 v20, v12, v24
	v_fmac_f32_e32 v20, v13, v25
	s_waitcnt lgkmcnt(1)
	v_fmac_f32_e32 v20, v32, v26
	v_fmac_f32_e32 v20, v33, v27
	s_waitcnt lgkmcnt(0)
	v_fmac_f32_e32 v20, v22, v28
	s_add_i32 s44, s44, 32
	v_fmac_f32_e32 v20, v23, v29
	s_cmp_ge_i32 s44, s21
	s_barrier
	s_cbranch_scc1 .LBB0_12
.LBB0_16:                               ;   Parent Loop BB0_10 Depth=1
                                        ;     Parent Loop BB0_13 Depth=2
                                        ; =>    This Inner Loop Header: Depth=3
	s_mov_b64 s[34:35], -1
	s_and_b64 vcc, exec, s[22:23]
                                        ; implicit-def: $vgpr12
	s_cbranch_vccnz .LBB0_25
; %bb.17:                               ;   in Loop: Header=BB0_16 Depth=3
	s_andn2_b64 vcc, exec, s[34:35]
	s_cbranch_vccz .LBB0_30
.LBB0_18:                               ;   in Loop: Header=BB0_16 Depth=3
	s_and_b64 vcc, exec, s[24:25]
	s_waitcnt vmcnt(0)
	ds_write_b32 v9, v12
	s_cbranch_vccz .LBB0_35
.LBB0_19:                               ;   in Loop: Header=BB0_16 Depth=3
	s_mov_b64 s[36:37], 0
	s_mov_b64 s[34:35], 0
                                        ; implicit-def: $vgpr12
	s_and_saveexec_b64 s[38:39], s[6:7]
	s_cbranch_execz .LBB0_23
; %bb.20:                               ;   in Loop: Header=BB0_16 Depth=3
	v_add_u32_e32 v13, s44, v0
	v_cmp_gt_i32_e32 vcc, s21, v13
                                        ; implicit-def: $vgpr12
	s_and_saveexec_b64 s[40:41], vcc
	s_xor_b64 s[40:41], exec, s[40:41]
; %bb.21:                               ;   in Loop: Header=BB0_16 Depth=3
	v_add_u32_e32 v12, s31, v13
	s_mov_b64 s[34:35], exec
	v_mad_u64_u32 v[12:13], s[46:47], v12, s20, v[10:11]
; %bb.22:                               ;   in Loop: Header=BB0_16 Depth=3
	s_or_b64 exec, exec, s[40:41]
	s_and_b64 s[34:35], s[34:35], exec
.LBB0_23:                               ;   in Loop: Header=BB0_16 Depth=3
	s_or_b64 exec, exec, s[38:39]
	s_and_b64 vcc, exec, s[36:37]
	s_cbranch_vccnz .LBB0_36
.LBB0_24:                               ;   in Loop: Header=BB0_16 Depth=3
	v_mov_b32_e32 v13, 0
	s_and_saveexec_b64 s[36:37], s[34:35]
	s_cbranch_execz .LBB0_15
	s_branch .LBB0_41
.LBB0_25:                               ;   in Loop: Header=BB0_16 Depth=3
	v_mov_b32_e32 v12, 0
	s_and_saveexec_b64 s[34:35], s[0:1]
	s_cbranch_execz .LBB0_29
; %bb.26:                               ;   in Loop: Header=BB0_16 Depth=3
	v_add_u32_e32 v12, s44, v1
	v_cmp_gt_i32_e32 vcc, s21, v12
	v_mov_b32_e32 v12, 0
	s_and_saveexec_b64 s[36:37], vcc
	s_cbranch_execz .LBB0_28
; %bb.27:                               ;   in Loop: Header=BB0_16 Depth=3
	v_add_u32_e32 v12, s44, v21
	v_ashrrev_i32_e32 v13, 31, v12
	v_mul_lo_u32 v22, s8, v13
	v_mul_lo_u32 v23, s9, v12
	v_mad_u64_u32 v[12:13], s[38:39], s8, v12, 0
	v_add3_u32 v13, v13, v22, v23
	v_lshl_add_u64 v[12:13], v[12:13], 2, v[2:3]
	global_load_dword v12, v[12:13], off
.LBB0_28:                               ;   in Loop: Header=BB0_16 Depth=3
	s_or_b64 exec, exec, s[36:37]
.LBB0_29:                               ;   in Loop: Header=BB0_16 Depth=3
	s_or_b64 exec, exec, s[34:35]
	s_cbranch_execnz .LBB0_18
.LBB0_30:                               ;   in Loop: Header=BB0_16 Depth=3
	s_waitcnt vmcnt(0)
	v_mov_b32_e32 v12, 0
	s_and_saveexec_b64 s[34:35], s[0:1]
	s_cbranch_execz .LBB0_34
; %bb.31:                               ;   in Loop: Header=BB0_16 Depth=3
	v_add_u32_e32 v12, s44, v1
	v_cmp_gt_i32_e32 vcc, s21, v12
	v_mov_b32_e32 v12, 0
	s_and_saveexec_b64 s[36:37], vcc
	s_cbranch_execz .LBB0_33
; %bb.32:                               ;   in Loop: Header=BB0_16 Depth=3
	v_add_u32_e32 v12, s44, v21
	v_ashrrev_i32_e32 v13, 31, v12
	v_lshl_add_u64 v[12:13], v[12:13], 2, v[4:5]
	global_load_dword v12, v[12:13], off
.LBB0_33:                               ;   in Loop: Header=BB0_16 Depth=3
	s_or_b64 exec, exec, s[36:37]
.LBB0_34:                               ;   in Loop: Header=BB0_16 Depth=3
	s_or_b64 exec, exec, s[34:35]
	s_and_b64 vcc, exec, s[24:25]
	s_waitcnt vmcnt(0)
	ds_write_b32 v9, v12
	s_cbranch_vccnz .LBB0_19
.LBB0_35:                               ;   in Loop: Header=BB0_16 Depth=3
	s_mov_b64 s[34:35], 0
                                        ; implicit-def: $vgpr12
	s_cbranch_execz .LBB0_24
.LBB0_36:                               ;   in Loop: Header=BB0_16 Depth=3
                                        ; implicit-def: $vgpr12
	s_and_saveexec_b64 s[36:37], s[6:7]
	s_cbranch_execz .LBB0_40
; %bb.37:                               ;   in Loop: Header=BB0_16 Depth=3
	v_add_u32_e32 v12, s44, v0
	v_cmp_gt_i32_e32 vcc, s21, v12
	s_mov_b64 s[38:39], s[34:35]
                                        ; implicit-def: $vgpr12
	s_and_saveexec_b64 s[40:41], vcc
; %bb.38:                               ;   in Loop: Header=BB0_16 Depth=3
	v_add_u32_e32 v12, s44, v11
	s_or_b64 s[38:39], s[34:35], exec
; %bb.39:                               ;   in Loop: Header=BB0_16 Depth=3
	s_or_b64 exec, exec, s[40:41]
	s_andn2_b64 s[34:35], s[34:35], exec
	s_and_b64 s[38:39], s[38:39], exec
	s_or_b64 s[34:35], s[34:35], s[38:39]
.LBB0_40:                               ;   in Loop: Header=BB0_16 Depth=3
	s_or_b64 exec, exec, s[36:37]
	v_mov_b32_e32 v13, 0
	s_and_saveexec_b64 s[36:37], s[34:35]
	s_cbranch_execz .LBB0_15
.LBB0_41:                               ;   in Loop: Header=BB0_16 Depth=3
	v_ashrrev_i32_e32 v13, 31, v12
	v_lshl_add_u64 v[12:13], v[12:13], 2, s[14:15]
	global_load_dword v13, v[12:13], off
	s_branch .LBB0_15
.LBB0_42:                               ;   in Loop: Header=BB0_10 Depth=1
	v_cmp_gt_i32_e32 vcc, s20, v10
	s_and_b64 s[30:31], s[26:27], vcc
	s_and_saveexec_b64 s[6:7], s[30:31]
	s_cbranch_execz .LBB0_9
; %bb.43:                               ;   in Loop: Header=BB0_10 Depth=1
	v_add_u32_e32 v10, s19, v10
	s_and_b64 vcc, exec, s[28:29]
	v_ashrrev_i32_e32 v11, 31, v10
	v_mul_f32_e32 v12, s18, v20
	s_cbranch_vccz .LBB0_45
; %bb.44:                               ;   in Loop: Header=BB0_10 Depth=1
	v_lshl_add_u64 v[20:21], v[10:11], 2, v[6:7]
	global_load_dword v13, v[20:21], off
	s_waitcnt vmcnt(0)
	v_fma_f32 v13, s10, v13, v12
	global_store_dword v[20:21], v13, off
	s_cbranch_execnz .LBB0_9
	s_branch .LBB0_46
.LBB0_45:                               ;   in Loop: Header=BB0_10 Depth=1
.LBB0_46:                               ;   in Loop: Header=BB0_10 Depth=1
	v_lshl_add_u64 v[10:11], v[10:11], 2, v[6:7]
	global_store_dword v[10:11], v12, off
	s_branch .LBB0_9
.LBB0_47:
	s_endpgm
	.section	.rodata,"a",@progbits
	.p2align	6, 0x0
	.amdhsa_kernel _ZN9rocsparseL31gebsrmm_general_blockdim_kernelILi32ELi32EfEEv20rocsparse_direction_20rocsparse_operation_iiNS_24const_host_device_scalarIT1_EEPKiS7_PKS4_iiS9_lS5_PS4_l21rocsparse_index_base_b
		.amdhsa_group_segment_fixed_size 8192
		.amdhsa_private_segment_fixed_size 0
		.amdhsa_kernarg_size 104
		.amdhsa_user_sgpr_count 2
		.amdhsa_user_sgpr_dispatch_ptr 0
		.amdhsa_user_sgpr_queue_ptr 0
		.amdhsa_user_sgpr_kernarg_segment_ptr 1
		.amdhsa_user_sgpr_dispatch_id 0
		.amdhsa_user_sgpr_kernarg_preload_length 0
		.amdhsa_user_sgpr_kernarg_preload_offset 0
		.amdhsa_user_sgpr_private_segment_size 0
		.amdhsa_uses_dynamic_stack 0
		.amdhsa_enable_private_segment 0
		.amdhsa_system_sgpr_workgroup_id_x 1
		.amdhsa_system_sgpr_workgroup_id_y 1
		.amdhsa_system_sgpr_workgroup_id_z 0
		.amdhsa_system_sgpr_workgroup_info 0
		.amdhsa_system_vgpr_workitem_id 1
		.amdhsa_next_free_vgpr 42
		.amdhsa_next_free_sgpr 48
		.amdhsa_accum_offset 44
		.amdhsa_reserve_vcc 1
		.amdhsa_float_round_mode_32 0
		.amdhsa_float_round_mode_16_64 0
		.amdhsa_float_denorm_mode_32 3
		.amdhsa_float_denorm_mode_16_64 3
		.amdhsa_dx10_clamp 1
		.amdhsa_ieee_mode 1
		.amdhsa_fp16_overflow 0
		.amdhsa_tg_split 0
		.amdhsa_exception_fp_ieee_invalid_op 0
		.amdhsa_exception_fp_denorm_src 0
		.amdhsa_exception_fp_ieee_div_zero 0
		.amdhsa_exception_fp_ieee_overflow 0
		.amdhsa_exception_fp_ieee_underflow 0
		.amdhsa_exception_fp_ieee_inexact 0
		.amdhsa_exception_int_div_zero 0
	.end_amdhsa_kernel
	.section	.text._ZN9rocsparseL31gebsrmm_general_blockdim_kernelILi32ELi32EfEEv20rocsparse_direction_20rocsparse_operation_iiNS_24const_host_device_scalarIT1_EEPKiS7_PKS4_iiS9_lS5_PS4_l21rocsparse_index_base_b,"axG",@progbits,_ZN9rocsparseL31gebsrmm_general_blockdim_kernelILi32ELi32EfEEv20rocsparse_direction_20rocsparse_operation_iiNS_24const_host_device_scalarIT1_EEPKiS7_PKS4_iiS9_lS5_PS4_l21rocsparse_index_base_b,comdat
.Lfunc_end0:
	.size	_ZN9rocsparseL31gebsrmm_general_blockdim_kernelILi32ELi32EfEEv20rocsparse_direction_20rocsparse_operation_iiNS_24const_host_device_scalarIT1_EEPKiS7_PKS4_iiS9_lS5_PS4_l21rocsparse_index_base_b, .Lfunc_end0-_ZN9rocsparseL31gebsrmm_general_blockdim_kernelILi32ELi32EfEEv20rocsparse_direction_20rocsparse_operation_iiNS_24const_host_device_scalarIT1_EEPKiS7_PKS4_iiS9_lS5_PS4_l21rocsparse_index_base_b
                                        ; -- End function
	.set _ZN9rocsparseL31gebsrmm_general_blockdim_kernelILi32ELi32EfEEv20rocsparse_direction_20rocsparse_operation_iiNS_24const_host_device_scalarIT1_EEPKiS7_PKS4_iiS9_lS5_PS4_l21rocsparse_index_base_b.num_vgpr, 42
	.set _ZN9rocsparseL31gebsrmm_general_blockdim_kernelILi32ELi32EfEEv20rocsparse_direction_20rocsparse_operation_iiNS_24const_host_device_scalarIT1_EEPKiS7_PKS4_iiS9_lS5_PS4_l21rocsparse_index_base_b.num_agpr, 0
	.set _ZN9rocsparseL31gebsrmm_general_blockdim_kernelILi32ELi32EfEEv20rocsparse_direction_20rocsparse_operation_iiNS_24const_host_device_scalarIT1_EEPKiS7_PKS4_iiS9_lS5_PS4_l21rocsparse_index_base_b.numbered_sgpr, 48
	.set _ZN9rocsparseL31gebsrmm_general_blockdim_kernelILi32ELi32EfEEv20rocsparse_direction_20rocsparse_operation_iiNS_24const_host_device_scalarIT1_EEPKiS7_PKS4_iiS9_lS5_PS4_l21rocsparse_index_base_b.num_named_barrier, 0
	.set _ZN9rocsparseL31gebsrmm_general_blockdim_kernelILi32ELi32EfEEv20rocsparse_direction_20rocsparse_operation_iiNS_24const_host_device_scalarIT1_EEPKiS7_PKS4_iiS9_lS5_PS4_l21rocsparse_index_base_b.private_seg_size, 0
	.set _ZN9rocsparseL31gebsrmm_general_blockdim_kernelILi32ELi32EfEEv20rocsparse_direction_20rocsparse_operation_iiNS_24const_host_device_scalarIT1_EEPKiS7_PKS4_iiS9_lS5_PS4_l21rocsparse_index_base_b.uses_vcc, 1
	.set _ZN9rocsparseL31gebsrmm_general_blockdim_kernelILi32ELi32EfEEv20rocsparse_direction_20rocsparse_operation_iiNS_24const_host_device_scalarIT1_EEPKiS7_PKS4_iiS9_lS5_PS4_l21rocsparse_index_base_b.uses_flat_scratch, 0
	.set _ZN9rocsparseL31gebsrmm_general_blockdim_kernelILi32ELi32EfEEv20rocsparse_direction_20rocsparse_operation_iiNS_24const_host_device_scalarIT1_EEPKiS7_PKS4_iiS9_lS5_PS4_l21rocsparse_index_base_b.has_dyn_sized_stack, 0
	.set _ZN9rocsparseL31gebsrmm_general_blockdim_kernelILi32ELi32EfEEv20rocsparse_direction_20rocsparse_operation_iiNS_24const_host_device_scalarIT1_EEPKiS7_PKS4_iiS9_lS5_PS4_l21rocsparse_index_base_b.has_recursion, 0
	.set _ZN9rocsparseL31gebsrmm_general_blockdim_kernelILi32ELi32EfEEv20rocsparse_direction_20rocsparse_operation_iiNS_24const_host_device_scalarIT1_EEPKiS7_PKS4_iiS9_lS5_PS4_l21rocsparse_index_base_b.has_indirect_call, 0
	.section	.AMDGPU.csdata,"",@progbits
; Kernel info:
; codeLenInByte = 1600
; TotalNumSgprs: 54
; NumVgprs: 42
; NumAgprs: 0
; TotalNumVgprs: 42
; ScratchSize: 0
; MemoryBound: 0
; FloatMode: 240
; IeeeMode: 1
; LDSByteSize: 8192 bytes/workgroup (compile time only)
; SGPRBlocks: 6
; VGPRBlocks: 5
; NumSGPRsForWavesPerEU: 54
; NumVGPRsForWavesPerEU: 42
; AccumOffset: 44
; Occupancy: 8
; WaveLimiterHint : 1
; COMPUTE_PGM_RSRC2:SCRATCH_EN: 0
; COMPUTE_PGM_RSRC2:USER_SGPR: 2
; COMPUTE_PGM_RSRC2:TRAP_HANDLER: 0
; COMPUTE_PGM_RSRC2:TGID_X_EN: 1
; COMPUTE_PGM_RSRC2:TGID_Y_EN: 1
; COMPUTE_PGM_RSRC2:TGID_Z_EN: 0
; COMPUTE_PGM_RSRC2:TIDIG_COMP_CNT: 1
; COMPUTE_PGM_RSRC3_GFX90A:ACCUM_OFFSET: 10
; COMPUTE_PGM_RSRC3_GFX90A:TG_SPLIT: 0
	.section	.text._ZN9rocsparseL31gebsrmm_general_blockdim_kernelILi32ELi32EdEEv20rocsparse_direction_20rocsparse_operation_iiNS_24const_host_device_scalarIT1_EEPKiS7_PKS4_iiS9_lS5_PS4_l21rocsparse_index_base_b,"axG",@progbits,_ZN9rocsparseL31gebsrmm_general_blockdim_kernelILi32ELi32EdEEv20rocsparse_direction_20rocsparse_operation_iiNS_24const_host_device_scalarIT1_EEPKiS7_PKS4_iiS9_lS5_PS4_l21rocsparse_index_base_b,comdat
	.globl	_ZN9rocsparseL31gebsrmm_general_blockdim_kernelILi32ELi32EdEEv20rocsparse_direction_20rocsparse_operation_iiNS_24const_host_device_scalarIT1_EEPKiS7_PKS4_iiS9_lS5_PS4_l21rocsparse_index_base_b ; -- Begin function _ZN9rocsparseL31gebsrmm_general_blockdim_kernelILi32ELi32EdEEv20rocsparse_direction_20rocsparse_operation_iiNS_24const_host_device_scalarIT1_EEPKiS7_PKS4_iiS9_lS5_PS4_l21rocsparse_index_base_b
	.p2align	8
	.type	_ZN9rocsparseL31gebsrmm_general_blockdim_kernelILi32ELi32EdEEv20rocsparse_direction_20rocsparse_operation_iiNS_24const_host_device_scalarIT1_EEPKiS7_PKS4_iiS9_lS5_PS4_l21rocsparse_index_base_b,@function
_ZN9rocsparseL31gebsrmm_general_blockdim_kernelILi32ELi32EdEEv20rocsparse_direction_20rocsparse_operation_iiNS_24const_host_device_scalarIT1_EEPKiS7_PKS4_iiS9_lS5_PS4_l21rocsparse_index_base_b: ; @_ZN9rocsparseL31gebsrmm_general_blockdim_kernelILi32ELi32EdEEv20rocsparse_direction_20rocsparse_operation_iiNS_24const_host_device_scalarIT1_EEPKiS7_PKS4_iiS9_lS5_PS4_l21rocsparse_index_base_b
; %bb.0:
	s_load_dwordx2 s[10:11], s[0:1], 0x60
	s_load_dwordx2 s[6:7], s[0:1], 0x10
	s_load_dwordx4 s[12:15], s[0:1], 0x40
	s_waitcnt lgkmcnt(0)
	s_bitcmp1_b32 s11, 0
	s_cselect_b64 s[8:9], -1, 0
	s_xor_b64 s[4:5], s[8:9], -1
	s_and_b64 vcc, exec, s[8:9]
	v_mov_b64_e32 v[2:3], s[6:7]
	s_cbranch_vccnz .LBB1_2
; %bb.1:
	v_mov_b64_e32 v[2:3], s[6:7]
	flat_load_dwordx2 v[2:3], v[2:3]
.LBB1_2:
	s_andn2_b64 vcc, exec, s[4:5]
	v_mov_b64_e32 v[4:5], s[14:15]
	s_cbranch_vccnz .LBB1_4
; %bb.3:
	v_mov_b64_e32 v[4:5], s[14:15]
	flat_load_dwordx2 v[4:5], v[4:5]
.LBB1_4:
	s_waitcnt vmcnt(0) lgkmcnt(0)
	v_cmp_neq_f64_e32 vcc, 0, v[2:3]
	v_cmp_neq_f64_e64 s[4:5], 1.0, v[4:5]
	s_or_b64 s[4:5], vcc, s[4:5]
	s_and_saveexec_b64 s[6:7], s[4:5]
	s_cbranch_execz .LBB1_47
; %bb.5:
	s_load_dwordx4 s[4:7], s[0:1], 0x0
	s_mov_b32 s11, 0
	s_mov_b32 s33, 0
	s_waitcnt lgkmcnt(0)
	s_cmp_lt_i32 s2, s6
	s_cselect_b64 s[8:9], -1, 0
	s_cmp_ge_i32 s2, s6
	s_cbranch_scc1 .LBB1_7
; %bb.6:
	s_load_dwordx2 s[14:15], s[0:1], 0x18
	s_mov_b32 s6, s3
	s_ashr_i32 s3, s2, 31
	s_lshl_b64 s[16:17], s[2:3], 2
	s_mov_b32 s3, s6
	s_waitcnt lgkmcnt(0)
	s_add_u32 s14, s14, s16
	s_addc_u32 s15, s15, s17
	s_load_dwordx2 s[16:17], s[14:15], 0x0
	s_waitcnt lgkmcnt(0)
	s_sub_i32 s11, s16, s10
	s_sub_i32 s33, s17, s10
.LBB1_7:
	s_load_dwordx2 s[14:15], s[0:1], 0x30
	s_waitcnt lgkmcnt(0)
	s_cmp_lt_i32 s14, 1
	s_cbranch_scc1 .LBB1_47
; %bb.8:
	s_load_dwordx4 s[28:31], s[0:1], 0x50
	s_load_dwordx4 s[16:19], s[0:1], 0x20
	s_load_dwordx2 s[22:23], s[0:1], 0x38
	v_and_b32_e32 v1, 0x3ff, v0
	v_bfe_u32 v0, v0, 10, 10
	v_lshl_add_u32 v8, s3, 5, v0
	v_ashrrev_i32_e32 v9, 31, v8
	s_cmp_lt_i32 s11, s33
	s_waitcnt lgkmcnt(0)
	v_mul_lo_u32 v6, s30, v9
	v_mul_lo_u32 v7, s31, v8
	v_mad_u64_u32 v[10:11], s[0:1], s30, v8, 0
	s_cselect_b64 s[26:27], -1, 0
	s_cmp_gt_i32 s15, 0
	v_add3_u32 v11, v11, v6, v7
	v_mul_lo_u32 v6, s12, v9
	v_mul_lo_u32 v7, s13, v8
	v_mad_u64_u32 v[12:13], s[0:1], s12, v8, 0
	s_cselect_b64 s[30:31], -1, 0
	s_cmpk_lg_i32 s5, 0x6f
	v_add3_u32 v13, v13, v6, v7
	s_cselect_b64 s[20:21], -1, 0
	s_cmp_lg_u32 s4, 0
	s_mul_i32 s4, s11, s14
	v_lshl_add_u64 v[6:7], v[8:9], 3, s[22:23]
	v_cmp_gt_i32_e64 s[0:1], s7, v8
	v_lshl_add_u64 v[8:9], v[12:13], 3, s[22:23]
	v_add_u32_e32 v12, s4, v1
	v_mad_u64_u32 v[12:13], s[4:5], s15, v12, v[0:1]
	v_lshlrev_b32_e32 v22, 3, v1
	v_cndmask_b32_e64 v13, 0, 1, s[26:27]
	v_or_b32_e32 v14, 0x2000, v22
	v_lshlrev_b32_e32 v23, 8, v0
	v_cmp_ne_u32_e64 s[4:5], 1, v13
	v_cndmask_b32_e64 v13, 0, 1, s[30:31]
	s_mul_i32 s38, s14, s2
	s_mov_b32 s39, 0
	s_cselect_b64 s[22:23], -1, 0
	s_and_b64 s[24:25], s[8:9], s[0:1]
	v_cmp_neq_f64_e64 s[2:3], 0, v[4:5]
	v_lshl_add_u64 v[10:11], v[10:11], 3, s[28:29]
	s_lshl_b32 s40, s15, 5
	s_mul_i32 s41, s15, s14
	v_cmp_ne_u32_e64 s[6:7], 1, v13
	v_add_u32_e32 v13, v14, v23
	v_add_u32_e32 v24, v22, v23
	v_add_u32_e32 v25, 0x800, v22
	v_add_u32_e32 v26, 0x1000, v22
	v_add_u32_e32 v27, 0x1800, v22
	s_branch .LBB1_10
.LBB1_9:                                ;   in Loop: Header=BB1_10 Depth=1
	s_or_b64 exec, exec, s[8:9]
	s_add_i32 s39, s39, 32
	s_cmp_lt_i32 s39, s14
	v_add_u32_e32 v12, s40, v12
	s_cbranch_scc0 .LBB1_47
.LBB1_10:                               ; =>This Loop Header: Depth=1
                                        ;     Child Loop BB1_13 Depth 2
                                        ;       Child Loop BB1_16 Depth 3
	v_add_u32_e32 v16, s39, v1
	v_mov_b64_e32 v[14:15], 0
	s_and_b64 vcc, exec, s[4:5]
	v_cmp_gt_i32_e64 s[8:9], s14, v16
	s_cbranch_vccnz .LBB1_42
; %bb.11:                               ;   in Loop: Header=BB1_10 Depth=1
	v_mov_b64_e32 v[14:15], 0
	v_mov_b32_e32 v17, v12
	s_mov_b32 s26, s11
	s_branch .LBB1_13
.LBB1_12:                               ;   in Loop: Header=BB1_13 Depth=2
	s_add_i32 s26, s26, 1
	s_cmp_ge_i32 s26, s33
	v_add_u32_e32 v17, s41, v17
	s_cbranch_scc1 .LBB1_42
.LBB1_13:                               ;   Parent Loop BB1_10 Depth=1
                                        ; =>  This Loop Header: Depth=2
                                        ;       Child Loop BB1_16 Depth 3
	s_and_b64 vcc, exec, s[6:7]
	s_cbranch_vccnz .LBB1_12
; %bb.14:                               ;   in Loop: Header=BB1_13 Depth=2
	s_ashr_i32 s27, s26, 31
	s_lshl_b64 s[28:29], s[26:27], 2
	s_add_u32 s28, s16, s28
	s_addc_u32 s29, s17, s29
	s_load_dword s28, s[28:29], 0x0
	s_mul_i32 s27, s26, s15
	s_mov_b32 s42, 0
	s_waitcnt lgkmcnt(0)
	s_sub_i32 s28, s28, s10
	s_mul_i32 s28, s28, s15
	v_add_u32_e32 v28, s28, v1
	s_branch .LBB1_16
.LBB1_15:                               ;   in Loop: Header=BB1_16 Depth=3
	s_or_b64 exec, exec, s[30:31]
	s_waitcnt vmcnt(0)
	ds_write_b64 v24, v[20:21]
	s_waitcnt lgkmcnt(0)
	s_barrier
	ds_read2_b64 v[18:21], v22 offset1:32
	ds_read_b128 v[30:33], v23 offset:8192
	ds_read_b128 v[34:37], v23 offset:8208
	ds_read2_b64 v[38:41], v22 offset0:64 offset1:96
	ds_read_b128 v[42:45], v23 offset:8224
	ds_read_b128 v[46:49], v23 offset:8240
	ds_read2_b64 v[50:53], v22 offset0:128 offset1:160
	s_waitcnt lgkmcnt(5)
	v_fmac_f64_e32 v[14:15], v[18:19], v[30:31]
	v_fmac_f64_e32 v[14:15], v[20:21], v[32:33]
	ds_read2_b64 v[18:21], v22 offset0:192 offset1:224
	s_waitcnt lgkmcnt(4)
	v_fmac_f64_e32 v[14:15], v[38:39], v[34:35]
	v_fmac_f64_e32 v[14:15], v[40:41], v[36:37]
	s_waitcnt lgkmcnt(1)
	v_fmac_f64_e32 v[14:15], v[50:51], v[42:43]
	v_fmac_f64_e32 v[14:15], v[52:53], v[44:45]
	ds_read2_b64 v[30:33], v25 offset1:32
	ds_read_b128 v[34:37], v23 offset:8256
	s_waitcnt lgkmcnt(2)
	v_fmac_f64_e32 v[14:15], v[18:19], v[46:47]
	v_fmac_f64_e32 v[14:15], v[20:21], v[48:49]
	ds_read2_b64 v[18:21], v25 offset0:64 offset1:96
	ds_read_b128 v[38:41], v23 offset:8272
	s_add_i32 s42, s42, 32
	s_waitcnt lgkmcnt(2)
	v_fmac_f64_e32 v[14:15], v[30:31], v[34:35]
	v_fmac_f64_e32 v[14:15], v[32:33], v[36:37]
	ds_read2_b64 v[30:33], v25 offset0:128 offset1:160
	ds_read_b128 v[34:37], v23 offset:8288
	s_waitcnt lgkmcnt(2)
	v_fmac_f64_e32 v[14:15], v[18:19], v[38:39]
	v_fmac_f64_e32 v[14:15], v[20:21], v[40:41]
	ds_read2_b64 v[18:21], v25 offset0:192 offset1:224
	ds_read_b128 v[38:41], v23 offset:8304
	s_cmp_ge_i32 s42, s15
	s_waitcnt lgkmcnt(2)
	v_fmac_f64_e32 v[14:15], v[30:31], v[34:35]
	v_fmac_f64_e32 v[14:15], v[32:33], v[36:37]
	ds_read2_b64 v[30:33], v26 offset1:32
	ds_read_b128 v[34:37], v23 offset:8320
	s_waitcnt lgkmcnt(2)
	v_fmac_f64_e32 v[14:15], v[18:19], v[38:39]
	v_fmac_f64_e32 v[14:15], v[20:21], v[40:41]
	ds_read2_b64 v[18:21], v26 offset0:64 offset1:96
	ds_read_b128 v[38:41], v23 offset:8336
	s_waitcnt lgkmcnt(2)
	v_fmac_f64_e32 v[14:15], v[30:31], v[34:35]
	v_fmac_f64_e32 v[14:15], v[32:33], v[36:37]
	ds_read2_b64 v[30:33], v26 offset0:128 offset1:160
	;; [unrolled: 5-line block ×3, first 2 shown]
	ds_read_b128 v[38:41], v23 offset:8368
	ds_read2_b64 v[42:45], v27 offset1:32
	ds_read_b128 v[46:49], v23 offset:8384
	s_waitcnt lgkmcnt(4)
	v_fmac_f64_e32 v[14:15], v[30:31], v[34:35]
	v_fmac_f64_e32 v[14:15], v[32:33], v[36:37]
	s_waitcnt lgkmcnt(2)
	v_fmac_f64_e32 v[14:15], v[18:19], v[38:39]
	v_fmac_f64_e32 v[14:15], v[20:21], v[40:41]
	ds_read_b128 v[18:21], v23 offset:8400
	s_waitcnt lgkmcnt(1)
	v_fmac_f64_e32 v[14:15], v[42:43], v[46:47]
	v_fmac_f64_e32 v[14:15], v[44:45], v[48:49]
	ds_read2_b64 v[30:33], v27 offset0:64 offset1:96
	ds_read2_b64 v[34:37], v27 offset0:128 offset1:160
	ds_read_b128 v[38:41], v23 offset:8416
	ds_read2_b64 v[42:45], v27 offset0:192 offset1:224
	ds_read_b128 v[46:49], v23 offset:8432
	s_waitcnt lgkmcnt(0)
	v_fmac_f64_e32 v[14:15], v[30:31], v[18:19]
	v_fmac_f64_e32 v[14:15], v[32:33], v[20:21]
	;; [unrolled: 1-line block ×6, first 2 shown]
	s_barrier
	s_cbranch_scc1 .LBB1_12
.LBB1_16:                               ;   Parent Loop BB1_10 Depth=1
                                        ;     Parent Loop BB1_13 Depth=2
                                        ; =>    This Inner Loop Header: Depth=3
	s_mov_b64 s[28:29], -1
	s_and_b64 vcc, exec, s[20:21]
                                        ; implicit-def: $vgpr18_vgpr19
	s_cbranch_vccnz .LBB1_25
; %bb.17:                               ;   in Loop: Header=BB1_16 Depth=3
	s_andn2_b64 vcc, exec, s[28:29]
	s_cbranch_vccz .LBB1_30
.LBB1_18:                               ;   in Loop: Header=BB1_16 Depth=3
	s_and_b64 vcc, exec, s[22:23]
	s_waitcnt vmcnt(0)
	ds_write_b64 v13, v[18:19]
	s_cbranch_vccz .LBB1_35
.LBB1_19:                               ;   in Loop: Header=BB1_16 Depth=3
	s_mov_b64 s[30:31], 0
	s_mov_b64 s[28:29], 0
                                        ; implicit-def: $vgpr18
	s_and_saveexec_b64 s[34:35], s[8:9]
	s_cbranch_execz .LBB1_23
; %bb.20:                               ;   in Loop: Header=BB1_16 Depth=3
	v_add_u32_e32 v19, s42, v0
	v_cmp_gt_i32_e32 vcc, s15, v19
                                        ; implicit-def: $vgpr18
	s_and_saveexec_b64 s[36:37], vcc
	s_xor_b64 s[36:37], exec, s[36:37]
; %bb.21:                               ;   in Loop: Header=BB1_16 Depth=3
	v_add_u32_e32 v18, s27, v19
	s_mov_b64 s[28:29], exec
	v_mad_u64_u32 v[18:19], s[44:45], v18, s14, v[16:17]
; %bb.22:                               ;   in Loop: Header=BB1_16 Depth=3
	s_or_b64 exec, exec, s[36:37]
	s_and_b64 s[28:29], s[28:29], exec
.LBB1_23:                               ;   in Loop: Header=BB1_16 Depth=3
	s_or_b64 exec, exec, s[34:35]
	s_and_b64 vcc, exec, s[30:31]
	s_cbranch_vccnz .LBB1_36
.LBB1_24:                               ;   in Loop: Header=BB1_16 Depth=3
	v_mov_b64_e32 v[20:21], 0
	s_and_saveexec_b64 s[30:31], s[28:29]
	s_cbranch_execz .LBB1_15
	s_branch .LBB1_41
.LBB1_25:                               ;   in Loop: Header=BB1_16 Depth=3
	v_mov_b64_e32 v[18:19], 0
	s_and_saveexec_b64 s[28:29], s[0:1]
	s_cbranch_execz .LBB1_29
; %bb.26:                               ;   in Loop: Header=BB1_16 Depth=3
	v_add_u32_e32 v18, s42, v1
	v_cmp_gt_i32_e32 vcc, s15, v18
	v_mov_b64_e32 v[18:19], 0
	s_and_saveexec_b64 s[30:31], vcc
	s_cbranch_execz .LBB1_28
; %bb.27:                               ;   in Loop: Header=BB1_16 Depth=3
	v_add_u32_e32 v18, s42, v28
	v_ashrrev_i32_e32 v19, 31, v18
	v_mul_lo_u32 v20, s12, v19
	v_mul_lo_u32 v21, s13, v18
	v_mad_u64_u32 v[18:19], s[34:35], s12, v18, 0
	v_add3_u32 v19, v19, v20, v21
	v_lshl_add_u64 v[18:19], v[18:19], 3, v[6:7]
	global_load_dwordx2 v[18:19], v[18:19], off
.LBB1_28:                               ;   in Loop: Header=BB1_16 Depth=3
	s_or_b64 exec, exec, s[30:31]
.LBB1_29:                               ;   in Loop: Header=BB1_16 Depth=3
	s_or_b64 exec, exec, s[28:29]
	s_cbranch_execnz .LBB1_18
.LBB1_30:                               ;   in Loop: Header=BB1_16 Depth=3
	s_waitcnt vmcnt(0)
	v_mov_b64_e32 v[18:19], 0
	s_and_saveexec_b64 s[28:29], s[0:1]
	s_cbranch_execz .LBB1_34
; %bb.31:                               ;   in Loop: Header=BB1_16 Depth=3
	v_add_u32_e32 v18, s42, v1
	v_cmp_gt_i32_e32 vcc, s15, v18
	v_mov_b64_e32 v[18:19], 0
	s_and_saveexec_b64 s[30:31], vcc
	s_cbranch_execz .LBB1_33
; %bb.32:                               ;   in Loop: Header=BB1_16 Depth=3
	v_add_u32_e32 v18, s42, v28
	v_ashrrev_i32_e32 v19, 31, v18
	v_lshl_add_u64 v[18:19], v[18:19], 3, v[8:9]
	global_load_dwordx2 v[18:19], v[18:19], off
.LBB1_33:                               ;   in Loop: Header=BB1_16 Depth=3
	s_or_b64 exec, exec, s[30:31]
.LBB1_34:                               ;   in Loop: Header=BB1_16 Depth=3
	s_or_b64 exec, exec, s[28:29]
	s_and_b64 vcc, exec, s[22:23]
	s_waitcnt vmcnt(0)
	ds_write_b64 v13, v[18:19]
	s_cbranch_vccnz .LBB1_19
.LBB1_35:                               ;   in Loop: Header=BB1_16 Depth=3
	s_mov_b64 s[28:29], 0
                                        ; implicit-def: $vgpr18
	s_cbranch_execz .LBB1_24
.LBB1_36:                               ;   in Loop: Header=BB1_16 Depth=3
                                        ; implicit-def: $vgpr18
	s_and_saveexec_b64 s[30:31], s[8:9]
	s_cbranch_execz .LBB1_40
; %bb.37:                               ;   in Loop: Header=BB1_16 Depth=3
	v_add_u32_e32 v18, s42, v0
	v_cmp_gt_i32_e32 vcc, s15, v18
	s_mov_b64 s[34:35], s[28:29]
                                        ; implicit-def: $vgpr18
	s_and_saveexec_b64 s[36:37], vcc
; %bb.38:                               ;   in Loop: Header=BB1_16 Depth=3
	v_add_u32_e32 v18, s42, v17
	s_or_b64 s[34:35], s[28:29], exec
; %bb.39:                               ;   in Loop: Header=BB1_16 Depth=3
	s_or_b64 exec, exec, s[36:37]
	s_andn2_b64 s[28:29], s[28:29], exec
	s_and_b64 s[34:35], s[34:35], exec
	s_or_b64 s[28:29], s[28:29], s[34:35]
.LBB1_40:                               ;   in Loop: Header=BB1_16 Depth=3
	s_or_b64 exec, exec, s[30:31]
	v_mov_b64_e32 v[20:21], 0
	s_and_saveexec_b64 s[30:31], s[28:29]
	s_cbranch_execz .LBB1_15
.LBB1_41:                               ;   in Loop: Header=BB1_16 Depth=3
	v_ashrrev_i32_e32 v19, 31, v18
	v_lshl_add_u64 v[18:19], v[18:19], 3, s[18:19]
	global_load_dwordx2 v[20:21], v[18:19], off
	s_branch .LBB1_15
.LBB1_42:                               ;   in Loop: Header=BB1_10 Depth=1
	v_cmp_gt_i32_e32 vcc, s14, v16
	s_and_b64 s[26:27], s[24:25], vcc
	s_and_saveexec_b64 s[8:9], s[26:27]
	s_cbranch_execz .LBB1_9
; %bb.43:                               ;   in Loop: Header=BB1_10 Depth=1
	v_add_u32_e32 v16, s38, v16
	s_and_saveexec_b64 s[26:27], s[2:3]
	s_xor_b64 s[26:27], exec, s[26:27]
	s_cbranch_execz .LBB1_45
; %bb.44:                               ;   in Loop: Header=BB1_10 Depth=1
	v_ashrrev_i32_e32 v17, 31, v16
	v_lshl_add_u64 v[16:17], v[16:17], 3, v[10:11]
	global_load_dwordx2 v[18:19], v[16:17], off
	v_mul_f64 v[14:15], v[2:3], v[14:15]
	s_waitcnt vmcnt(0)
	v_fmac_f64_e32 v[14:15], v[4:5], v[18:19]
	global_store_dwordx2 v[16:17], v[14:15], off
                                        ; implicit-def: $vgpr14_vgpr15
                                        ; implicit-def: $vgpr16
.LBB1_45:                               ;   in Loop: Header=BB1_10 Depth=1
	s_andn2_saveexec_b64 s[26:27], s[26:27]
	s_cbranch_execz .LBB1_9
; %bb.46:                               ;   in Loop: Header=BB1_10 Depth=1
	v_ashrrev_i32_e32 v17, 31, v16
	v_mul_f64 v[14:15], v[2:3], v[14:15]
	v_lshl_add_u64 v[16:17], v[16:17], 3, v[10:11]
	global_store_dwordx2 v[16:17], v[14:15], off
	s_branch .LBB1_9
.LBB1_47:
	s_endpgm
	.section	.rodata,"a",@progbits
	.p2align	6, 0x0
	.amdhsa_kernel _ZN9rocsparseL31gebsrmm_general_blockdim_kernelILi32ELi32EdEEv20rocsparse_direction_20rocsparse_operation_iiNS_24const_host_device_scalarIT1_EEPKiS7_PKS4_iiS9_lS5_PS4_l21rocsparse_index_base_b
		.amdhsa_group_segment_fixed_size 16384
		.amdhsa_private_segment_fixed_size 0
		.amdhsa_kernarg_size 104
		.amdhsa_user_sgpr_count 2
		.amdhsa_user_sgpr_dispatch_ptr 0
		.amdhsa_user_sgpr_queue_ptr 0
		.amdhsa_user_sgpr_kernarg_segment_ptr 1
		.amdhsa_user_sgpr_dispatch_id 0
		.amdhsa_user_sgpr_kernarg_preload_length 0
		.amdhsa_user_sgpr_kernarg_preload_offset 0
		.amdhsa_user_sgpr_private_segment_size 0
		.amdhsa_uses_dynamic_stack 0
		.amdhsa_enable_private_segment 0
		.amdhsa_system_sgpr_workgroup_id_x 1
		.amdhsa_system_sgpr_workgroup_id_y 1
		.amdhsa_system_sgpr_workgroup_id_z 0
		.amdhsa_system_sgpr_workgroup_info 0
		.amdhsa_system_vgpr_workitem_id 1
		.amdhsa_next_free_vgpr 54
		.amdhsa_next_free_sgpr 46
		.amdhsa_accum_offset 56
		.amdhsa_reserve_vcc 1
		.amdhsa_float_round_mode_32 0
		.amdhsa_float_round_mode_16_64 0
		.amdhsa_float_denorm_mode_32 3
		.amdhsa_float_denorm_mode_16_64 3
		.amdhsa_dx10_clamp 1
		.amdhsa_ieee_mode 1
		.amdhsa_fp16_overflow 0
		.amdhsa_tg_split 0
		.amdhsa_exception_fp_ieee_invalid_op 0
		.amdhsa_exception_fp_denorm_src 0
		.amdhsa_exception_fp_ieee_div_zero 0
		.amdhsa_exception_fp_ieee_overflow 0
		.amdhsa_exception_fp_ieee_underflow 0
		.amdhsa_exception_fp_ieee_inexact 0
		.amdhsa_exception_int_div_zero 0
	.end_amdhsa_kernel
	.section	.text._ZN9rocsparseL31gebsrmm_general_blockdim_kernelILi32ELi32EdEEv20rocsparse_direction_20rocsparse_operation_iiNS_24const_host_device_scalarIT1_EEPKiS7_PKS4_iiS9_lS5_PS4_l21rocsparse_index_base_b,"axG",@progbits,_ZN9rocsparseL31gebsrmm_general_blockdim_kernelILi32ELi32EdEEv20rocsparse_direction_20rocsparse_operation_iiNS_24const_host_device_scalarIT1_EEPKiS7_PKS4_iiS9_lS5_PS4_l21rocsparse_index_base_b,comdat
.Lfunc_end1:
	.size	_ZN9rocsparseL31gebsrmm_general_blockdim_kernelILi32ELi32EdEEv20rocsparse_direction_20rocsparse_operation_iiNS_24const_host_device_scalarIT1_EEPKiS7_PKS4_iiS9_lS5_PS4_l21rocsparse_index_base_b, .Lfunc_end1-_ZN9rocsparseL31gebsrmm_general_blockdim_kernelILi32ELi32EdEEv20rocsparse_direction_20rocsparse_operation_iiNS_24const_host_device_scalarIT1_EEPKiS7_PKS4_iiS9_lS5_PS4_l21rocsparse_index_base_b
                                        ; -- End function
	.set _ZN9rocsparseL31gebsrmm_general_blockdim_kernelILi32ELi32EdEEv20rocsparse_direction_20rocsparse_operation_iiNS_24const_host_device_scalarIT1_EEPKiS7_PKS4_iiS9_lS5_PS4_l21rocsparse_index_base_b.num_vgpr, 54
	.set _ZN9rocsparseL31gebsrmm_general_blockdim_kernelILi32ELi32EdEEv20rocsparse_direction_20rocsparse_operation_iiNS_24const_host_device_scalarIT1_EEPKiS7_PKS4_iiS9_lS5_PS4_l21rocsparse_index_base_b.num_agpr, 0
	.set _ZN9rocsparseL31gebsrmm_general_blockdim_kernelILi32ELi32EdEEv20rocsparse_direction_20rocsparse_operation_iiNS_24const_host_device_scalarIT1_EEPKiS7_PKS4_iiS9_lS5_PS4_l21rocsparse_index_base_b.numbered_sgpr, 46
	.set _ZN9rocsparseL31gebsrmm_general_blockdim_kernelILi32ELi32EdEEv20rocsparse_direction_20rocsparse_operation_iiNS_24const_host_device_scalarIT1_EEPKiS7_PKS4_iiS9_lS5_PS4_l21rocsparse_index_base_b.num_named_barrier, 0
	.set _ZN9rocsparseL31gebsrmm_general_blockdim_kernelILi32ELi32EdEEv20rocsparse_direction_20rocsparse_operation_iiNS_24const_host_device_scalarIT1_EEPKiS7_PKS4_iiS9_lS5_PS4_l21rocsparse_index_base_b.private_seg_size, 0
	.set _ZN9rocsparseL31gebsrmm_general_blockdim_kernelILi32ELi32EdEEv20rocsparse_direction_20rocsparse_operation_iiNS_24const_host_device_scalarIT1_EEPKiS7_PKS4_iiS9_lS5_PS4_l21rocsparse_index_base_b.uses_vcc, 1
	.set _ZN9rocsparseL31gebsrmm_general_blockdim_kernelILi32ELi32EdEEv20rocsparse_direction_20rocsparse_operation_iiNS_24const_host_device_scalarIT1_EEPKiS7_PKS4_iiS9_lS5_PS4_l21rocsparse_index_base_b.uses_flat_scratch, 0
	.set _ZN9rocsparseL31gebsrmm_general_blockdim_kernelILi32ELi32EdEEv20rocsparse_direction_20rocsparse_operation_iiNS_24const_host_device_scalarIT1_EEPKiS7_PKS4_iiS9_lS5_PS4_l21rocsparse_index_base_b.has_dyn_sized_stack, 0
	.set _ZN9rocsparseL31gebsrmm_general_blockdim_kernelILi32ELi32EdEEv20rocsparse_direction_20rocsparse_operation_iiNS_24const_host_device_scalarIT1_EEPKiS7_PKS4_iiS9_lS5_PS4_l21rocsparse_index_base_b.has_recursion, 0
	.set _ZN9rocsparseL31gebsrmm_general_blockdim_kernelILi32ELi32EdEEv20rocsparse_direction_20rocsparse_operation_iiNS_24const_host_device_scalarIT1_EEPKiS7_PKS4_iiS9_lS5_PS4_l21rocsparse_index_base_b.has_indirect_call, 0
	.section	.AMDGPU.csdata,"",@progbits
; Kernel info:
; codeLenInByte = 1684
; TotalNumSgprs: 52
; NumVgprs: 54
; NumAgprs: 0
; TotalNumVgprs: 54
; ScratchSize: 0
; MemoryBound: 0
; FloatMode: 240
; IeeeMode: 1
; LDSByteSize: 16384 bytes/workgroup (compile time only)
; SGPRBlocks: 6
; VGPRBlocks: 6
; NumSGPRsForWavesPerEU: 52
; NumVGPRsForWavesPerEU: 54
; AccumOffset: 56
; Occupancy: 8
; WaveLimiterHint : 1
; COMPUTE_PGM_RSRC2:SCRATCH_EN: 0
; COMPUTE_PGM_RSRC2:USER_SGPR: 2
; COMPUTE_PGM_RSRC2:TRAP_HANDLER: 0
; COMPUTE_PGM_RSRC2:TGID_X_EN: 1
; COMPUTE_PGM_RSRC2:TGID_Y_EN: 1
; COMPUTE_PGM_RSRC2:TGID_Z_EN: 0
; COMPUTE_PGM_RSRC2:TIDIG_COMP_CNT: 1
; COMPUTE_PGM_RSRC3_GFX90A:ACCUM_OFFSET: 13
; COMPUTE_PGM_RSRC3_GFX90A:TG_SPLIT: 0
	.section	.text._ZN9rocsparseL31gebsrmm_general_blockdim_kernelILi32ELi32E21rocsparse_complex_numIfEEEv20rocsparse_direction_20rocsparse_operation_iiNS_24const_host_device_scalarIT1_EEPKiS9_PKS6_iiSB_lS7_PS6_l21rocsparse_index_base_b,"axG",@progbits,_ZN9rocsparseL31gebsrmm_general_blockdim_kernelILi32ELi32E21rocsparse_complex_numIfEEEv20rocsparse_direction_20rocsparse_operation_iiNS_24const_host_device_scalarIT1_EEPKiS9_PKS6_iiSB_lS7_PS6_l21rocsparse_index_base_b,comdat
	.globl	_ZN9rocsparseL31gebsrmm_general_blockdim_kernelILi32ELi32E21rocsparse_complex_numIfEEEv20rocsparse_direction_20rocsparse_operation_iiNS_24const_host_device_scalarIT1_EEPKiS9_PKS6_iiSB_lS7_PS6_l21rocsparse_index_base_b ; -- Begin function _ZN9rocsparseL31gebsrmm_general_blockdim_kernelILi32ELi32E21rocsparse_complex_numIfEEEv20rocsparse_direction_20rocsparse_operation_iiNS_24const_host_device_scalarIT1_EEPKiS9_PKS6_iiSB_lS7_PS6_l21rocsparse_index_base_b
	.p2align	8
	.type	_ZN9rocsparseL31gebsrmm_general_blockdim_kernelILi32ELi32E21rocsparse_complex_numIfEEEv20rocsparse_direction_20rocsparse_operation_iiNS_24const_host_device_scalarIT1_EEPKiS9_PKS6_iiSB_lS7_PS6_l21rocsparse_index_base_b,@function
_ZN9rocsparseL31gebsrmm_general_blockdim_kernelILi32ELi32E21rocsparse_complex_numIfEEEv20rocsparse_direction_20rocsparse_operation_iiNS_24const_host_device_scalarIT1_EEPKiS9_PKS6_iiSB_lS7_PS6_l21rocsparse_index_base_b: ; @_ZN9rocsparseL31gebsrmm_general_blockdim_kernelILi32ELi32E21rocsparse_complex_numIfEEEv20rocsparse_direction_20rocsparse_operation_iiNS_24const_host_device_scalarIT1_EEPKiS9_PKS6_iiSB_lS7_PS6_l21rocsparse_index_base_b
; %bb.0:
	s_load_dwordx2 s[4:5], s[0:1], 0x10
	s_load_dwordx4 s[12:15], s[0:1], 0x40
	s_load_dwordx2 s[16:17], s[0:1], 0x60
	s_add_u32 s6, s0, 16
	s_addc_u32 s7, s1, 0
	s_add_u32 s8, s0, 0x48
	s_addc_u32 s9, s1, 0
	s_waitcnt lgkmcnt(0)
	s_bitcmp1_b32 s17, 0
	s_cselect_b32 s5, s7, s5
	s_cselect_b32 s4, s6, s4
	v_mov_b32_e32 v2, s4
	v_mov_b32_e32 v3, s5
	s_cselect_b32 s4, s9, s15
	s_cselect_b32 s5, s8, s14
	v_mov_b32_e32 v4, s5
	v_mov_b32_e32 v5, s4
	flat_load_dwordx2 v[2:3], v[2:3]
	s_mov_b32 s17, 0
	flat_load_dwordx2 v[4:5], v[4:5]
	s_waitcnt vmcnt(0) lgkmcnt(0)
	v_cmp_eq_f32_e64 s[4:5], 0, v2
	v_cmp_eq_f32_e64 s[6:7], 0, v3
	v_cmp_eq_f32_e64 s[8:9], 1.0, v4
	v_cmp_eq_f32_e32 vcc, 0, v5
	s_and_b64 s[4:5], s[4:5], s[6:7]
	s_and_b64 s[6:7], s[8:9], vcc
	s_and_b64 s[4:5], s[4:5], s[6:7]
	s_xor_b64 s[4:5], s[4:5], -1
	s_and_saveexec_b64 s[6:7], s[4:5]
	s_cbranch_execz .LBB2_45
; %bb.1:
	s_load_dwordx4 s[4:7], s[0:1], 0x0
	s_mov_b32 s33, 0
	s_waitcnt lgkmcnt(0)
	s_cmp_lt_i32 s2, s6
	s_cselect_b64 s[22:23], -1, 0
	s_cmp_ge_i32 s2, s6
	s_cbranch_scc1 .LBB2_3
; %bb.2:
	s_load_dwordx2 s[8:9], s[0:1], 0x18
	s_mov_b32 s6, s3
	s_ashr_i32 s3, s2, 31
	s_lshl_b64 s[10:11], s[2:3], 2
	s_mov_b32 s3, s6
	s_waitcnt lgkmcnt(0)
	s_add_u32 s8, s8, s10
	s_addc_u32 s9, s9, s11
	s_load_dwordx2 s[10:11], s[8:9], 0x0
	s_waitcnt lgkmcnt(0)
	s_sub_i32 s17, s10, s16
	s_sub_i32 s33, s11, s16
.LBB2_3:
	s_load_dwordx2 s[14:15], s[0:1], 0x30
	s_waitcnt lgkmcnt(0)
	s_cmp_lt_i32 s14, 1
	s_cbranch_scc1 .LBB2_45
; %bb.4:
	s_load_dwordx4 s[28:31], s[0:1], 0x50
	s_load_dwordx4 s[8:11], s[0:1], 0x20
	s_load_dwordx2 s[20:21], s[0:1], 0x38
	v_and_b32_e32 v1, 0x3ff, v0
	v_bfe_u32 v0, v0, 10, 10
	v_lshl_add_u32 v8, s3, 5, v0
	v_ashrrev_i32_e32 v9, 31, v8
	s_cmp_lt_i32 s17, s33
	s_waitcnt lgkmcnt(0)
	v_mul_lo_u32 v6, s30, v9
	v_mul_lo_u32 v7, s31, v8
	v_mad_u64_u32 v[10:11], s[0:1], s30, v8, 0
	s_cselect_b64 s[26:27], -1, 0
	s_cmp_gt_i32 s15, 0
	v_add3_u32 v11, v11, v6, v7
	v_mul_lo_u32 v6, s12, v9
	v_mul_lo_u32 v7, s13, v8
	v_mad_u64_u32 v[12:13], s[0:1], s12, v8, 0
	s_cselect_b64 s[30:31], -1, 0
	s_cmpk_lg_i32 s5, 0x6f
	v_add3_u32 v13, v13, v6, v7
	s_cselect_b64 s[18:19], -1, 0
	s_cmp_lg_u32 s4, 0
	s_mul_i32 s38, s14, s2
	v_lshl_add_u64 v[6:7], v[8:9], 3, s[20:21]
	v_cmp_gt_i32_e64 s[0:1], s7, v8
	v_lshl_add_u64 v[8:9], v[12:13], 3, s[20:21]
	s_cselect_b64 s[20:21], -1, 0
	v_cmp_neq_f32_e64 s[2:3], 0, v4
	s_xor_b64 s[4:5], vcc, -1
	s_or_b64 s[24:25], s[2:3], s[4:5]
	s_mul_i32 s2, s17, s14
	v_add_u32_e32 v16, s2, v1
	v_mad_u64_u32 v[16:17], s[2:3], s15, v16, v[0:1]
	v_lshlrev_b32_e32 v28, 3, v1
	v_cndmask_b32_e64 v17, 0, 1, s[26:27]
	v_or_b32_e32 v19, 0x2000, v28
	v_lshlrev_b32_e32 v29, 8, v0
	v_cmp_ne_u32_e64 s[2:3], 1, v17
	v_cndmask_b32_e64 v17, 0, 1, s[30:31]
	s_mov_b32 s39, 0
	s_and_b64 s[22:23], s[22:23], s[0:1]
	v_lshl_add_u64 v[10:11], v[10:11], 3, s[28:29]
	v_xor_b32_e32 v12, 0x80000000, v3
	v_xor_b32_e32 v14, 0x80000000, v5
	v_mov_b32_e32 v13, v2
	v_mov_b32_e32 v15, v4
	s_lshl_b32 s40, s15, 5
	s_mul_i32 s41, s15, s14
	v_mov_b32_e32 v18, 0
	v_cmp_ne_u32_e64 s[4:5], 1, v17
	v_add_u32_e32 v17, v19, v29
	v_add_u32_e32 v30, v28, v29
	;; [unrolled: 1-line block ×5, first 2 shown]
	s_branch .LBB2_6
.LBB2_5:                                ;   in Loop: Header=BB2_6 Depth=1
	s_or_b64 exec, exec, s[6:7]
	s_add_i32 s39, s39, 32
	s_cmp_lt_i32 s39, s14
	v_add_u32_e32 v16, s40, v16
	s_cbranch_scc0 .LBB2_45
.LBB2_6:                                ; =>This Loop Header: Depth=1
                                        ;     Child Loop BB2_9 Depth 2
                                        ;       Child Loop BB2_12 Depth 3
	v_add_u32_e32 v20, s39, v1
	v_mov_b32_e32 v19, v18
	s_and_b64 vcc, exec, s[2:3]
	v_cmp_gt_i32_e64 s[6:7], s14, v20
	v_mov_b64_e32 v[22:23], v[18:19]
	s_cbranch_vccnz .LBB2_40
; %bb.7:                                ;   in Loop: Header=BB2_6 Depth=1
	v_mov_b32_e32 v19, v18
	v_mov_b32_e32 v21, v16
	s_mov_b32 s26, s17
	v_mov_b64_e32 v[22:23], v[18:19]
	s_branch .LBB2_9
.LBB2_8:                                ;   in Loop: Header=BB2_9 Depth=2
	s_add_i32 s26, s26, 1
	s_cmp_ge_i32 s26, s33
	v_add_u32_e32 v21, s41, v21
	s_cbranch_scc1 .LBB2_40
.LBB2_9:                                ;   Parent Loop BB2_6 Depth=1
                                        ; =>  This Loop Header: Depth=2
                                        ;       Child Loop BB2_12 Depth 3
	s_and_b64 vcc, exec, s[4:5]
	s_cbranch_vccnz .LBB2_8
; %bb.10:                               ;   in Loop: Header=BB2_9 Depth=2
	s_ashr_i32 s27, s26, 31
	s_lshl_b64 s[28:29], s[26:27], 2
	s_add_u32 s28, s8, s28
	s_addc_u32 s29, s9, s29
	s_load_dword s28, s[28:29], 0x0
	s_mul_i32 s27, s26, s15
	s_mov_b32 s42, 0
	s_waitcnt lgkmcnt(0)
	s_sub_i32 s28, s28, s16
	s_mul_i32 s28, s28, s15
	v_add_u32_e32 v19, s28, v1
	s_branch .LBB2_12
.LBB2_11:                               ;   in Loop: Header=BB2_12 Depth=3
	s_or_b64 exec, exec, s[30:31]
	s_waitcnt vmcnt(0)
	ds_write_b64 v30, v[26:27]
	s_waitcnt lgkmcnt(0)
	s_barrier
	ds_read2_b64 v[24:27], v28 offset1:32
	ds_read_b128 v[34:37], v29 offset:8192
	ds_read_b128 v[38:41], v29 offset:8208
	;; [unrolled: 1-line block ×4, first 2 shown]
	s_waitcnt lgkmcnt(4)
	v_xor_b32_e32 v50, 0x80000000, v25
	s_waitcnt lgkmcnt(3)
	v_pk_fma_f32 v[22:23], v[24:25], v[34:35], v[22:23] op_sel_hi:[1,0,1]
	v_mov_b32_e32 v51, v24
	v_pk_fma_f32 v[34:35], v[50:51], v[34:35], v[22:23] op_sel:[0,1,0]
	ds_read2_b64 v[22:25], v28 offset0:64 offset1:96
	v_xor_b32_e32 v50, 0x80000000, v27
	v_pk_fma_f32 v[34:35], v[26:27], v[36:37], v[34:35] op_sel_hi:[1,0,1]
	v_mov_b32_e32 v51, v26
	v_mov_b32_e32 v26, v37
	v_pk_fma_f32 v[26:27], v[50:51], v[26:27], v[34:35] op_sel_hi:[1,0,1]
	s_waitcnt lgkmcnt(0)
	v_xor_b32_e32 v34, 0x80000000, v23
	v_pk_fma_f32 v[26:27], v[22:23], v[38:39], v[26:27] op_sel_hi:[1,0,1]
	v_mov_b32_e32 v35, v22
	v_pk_fma_f32 v[22:23], v[34:35], v[38:39], v[26:27] op_sel:[0,1,0]
	ds_read2_b64 v[34:37], v28 offset0:128 offset1:160
	v_xor_b32_e32 v26, 0x80000000, v25
	v_pk_fma_f32 v[22:23], v[24:25], v[40:41], v[22:23] op_sel_hi:[1,0,1]
	v_mov_b32_e32 v27, v24
	v_mov_b32_e32 v24, v41
	v_pk_fma_f32 v[22:23], v[26:27], v[24:25], v[22:23] op_sel_hi:[1,0,1]
	s_waitcnt lgkmcnt(0)
	v_xor_b32_e32 v24, 0x80000000, v35
	v_pk_fma_f32 v[22:23], v[34:35], v[42:43], v[22:23] op_sel_hi:[1,0,1]
	v_mov_b32_e32 v25, v34
	v_pk_fma_f32 v[26:27], v[24:25], v[42:43], v[22:23] op_sel:[0,1,0]
	ds_read_b128 v[22:25], v29 offset:8256
	ds_read_b128 v[38:41], v29 offset:8272
	ds_read2_b64 v[50:53], v28 offset0:192 offset1:224
	v_xor_b32_e32 v34, 0x80000000, v37
	v_pk_fma_f32 v[26:27], v[36:37], v[44:45], v[26:27] op_sel_hi:[1,0,1]
	v_mov_b32_e32 v35, v36
	v_mov_b32_e32 v36, v45
	v_pk_fma_f32 v[26:27], v[34:35], v[36:37], v[26:27] op_sel_hi:[1,0,1]
	s_waitcnt lgkmcnt(0)
	v_xor_b32_e32 v34, 0x80000000, v51
	v_pk_fma_f32 v[26:27], v[50:51], v[46:47], v[26:27] op_sel_hi:[1,0,1]
	v_mov_b32_e32 v35, v50
	v_pk_fma_f32 v[26:27], v[34:35], v[46:47], v[26:27] op_sel:[0,1,0]
	ds_read2_b64 v[34:37], v31 offset1:32
	v_xor_b32_e32 v42, 0x80000000, v53
	v_pk_fma_f32 v[26:27], v[52:53], v[48:49], v[26:27] op_sel_hi:[1,0,1]
	v_mov_b32_e32 v43, v52
	v_mov_b32_e32 v44, v49
	v_pk_fma_f32 v[26:27], v[42:43], v[44:45], v[26:27] op_sel_hi:[1,0,1]
	s_waitcnt lgkmcnt(0)
	v_xor_b32_e32 v42, 0x80000000, v35
	v_pk_fma_f32 v[26:27], v[34:35], v[22:23], v[26:27] op_sel_hi:[1,0,1]
	v_mov_b32_e32 v43, v34
	v_pk_fma_f32 v[22:23], v[42:43], v[22:23], v[26:27] op_sel:[0,1,0]
	ds_read2_b64 v[42:45], v31 offset0:64 offset1:96
	v_xor_b32_e32 v26, 0x80000000, v37
	v_pk_fma_f32 v[22:23], v[36:37], v[24:25], v[22:23] op_sel_hi:[1,0,1]
	v_mov_b32_e32 v27, v36
	v_mov_b32_e32 v24, v25
	v_pk_fma_f32 v[22:23], v[26:27], v[24:25], v[22:23] op_sel_hi:[1,0,1]
	s_waitcnt lgkmcnt(0)
	v_xor_b32_e32 v26, 0x80000000, v43
	v_pk_fma_f32 v[46:47], v[42:43], v[38:39], v[22:23] op_sel_hi:[1,0,1]
	v_mov_b32_e32 v27, v42
	ds_read_b128 v[22:25], v29 offset:8288
	ds_read_b128 v[34:37], v29 offset:8304
	v_pk_fma_f32 v[26:27], v[26:27], v[38:39], v[46:47] op_sel:[0,1,0]
	ds_read2_b64 v[46:49], v31 offset0:128 offset1:160
	v_xor_b32_e32 v38, 0x80000000, v45
	v_pk_fma_f32 v[26:27], v[44:45], v[40:41], v[26:27] op_sel_hi:[1,0,1]
	v_mov_b32_e32 v39, v44
	v_mov_b32_e32 v40, v41
	v_pk_fma_f32 v[26:27], v[38:39], v[40:41], v[26:27] op_sel_hi:[1,0,1]
	s_waitcnt lgkmcnt(0)
	v_xor_b32_e32 v38, 0x80000000, v47
	v_pk_fma_f32 v[26:27], v[46:47], v[22:23], v[26:27] op_sel_hi:[1,0,1]
	v_mov_b32_e32 v39, v46
	v_pk_fma_f32 v[22:23], v[38:39], v[22:23], v[26:27] op_sel:[0,1,0]
	ds_read2_b64 v[38:41], v31 offset0:192 offset1:224
	v_xor_b32_e32 v26, 0x80000000, v49
	v_pk_fma_f32 v[22:23], v[48:49], v[24:25], v[22:23] op_sel_hi:[1,0,1]
	v_mov_b32_e32 v27, v48
	v_mov_b32_e32 v24, v25
	v_pk_fma_f32 v[22:23], v[26:27], v[24:25], v[22:23] op_sel_hi:[1,0,1]
	s_waitcnt lgkmcnt(0)
	v_xor_b32_e32 v24, 0x80000000, v39
	v_pk_fma_f32 v[22:23], v[38:39], v[34:35], v[22:23] op_sel_hi:[1,0,1]
	v_mov_b32_e32 v25, v38
	v_pk_fma_f32 v[22:23], v[24:25], v[34:35], v[22:23] op_sel:[0,1,0]
	v_mov_b32_e32 v27, v40
	v_pk_fma_f32 v[38:39], v[40:41], v[36:37], v[22:23] op_sel_hi:[1,0,1]
	v_mov_b32_e32 v40, v37
	ds_read2_b64 v[22:25], v32 offset1:32
	ds_read_b128 v[34:37], v29 offset:8320
	v_xor_b32_e32 v26, 0x80000000, v41
	v_pk_fma_f32 v[26:27], v[26:27], v[40:41], v[38:39] op_sel_hi:[1,0,1]
	ds_read_b128 v[38:41], v29 offset:8336
	ds_read_b128 v[42:45], v29 offset:8352
	s_waitcnt lgkmcnt(3)
	v_xor_b32_e32 v46, 0x80000000, v23
	s_waitcnt lgkmcnt(2)
	v_pk_fma_f32 v[26:27], v[22:23], v[34:35], v[26:27] op_sel_hi:[1,0,1]
	v_mov_b32_e32 v47, v22
	v_pk_fma_f32 v[22:23], v[46:47], v[34:35], v[26:27] op_sel:[0,1,0]
	ds_read2_b64 v[46:49], v32 offset0:64 offset1:96
	v_xor_b32_e32 v26, 0x80000000, v25
	v_pk_fma_f32 v[22:23], v[24:25], v[36:37], v[22:23] op_sel_hi:[1,0,1]
	v_mov_b32_e32 v27, v24
	v_mov_b32_e32 v24, v37
	v_pk_fma_f32 v[22:23], v[26:27], v[24:25], v[22:23] op_sel_hi:[1,0,1]
	s_waitcnt lgkmcnt(0)
	v_xor_b32_e32 v24, 0x80000000, v47
	v_pk_fma_f32 v[22:23], v[46:47], v[38:39], v[22:23] op_sel_hi:[1,0,1]
	v_mov_b32_e32 v25, v46
	v_pk_fma_f32 v[26:27], v[24:25], v[38:39], v[22:23] op_sel:[0,1,0]
	ds_read2_b64 v[22:25], v32 offset0:128 offset1:160
	v_xor_b32_e32 v34, 0x80000000, v49
	v_pk_fma_f32 v[26:27], v[48:49], v[40:41], v[26:27] op_sel_hi:[1,0,1]
	v_mov_b32_e32 v35, v48
	v_mov_b32_e32 v36, v41
	v_pk_fma_f32 v[26:27], v[34:35], v[36:37], v[26:27] op_sel_hi:[1,0,1]
	ds_read_b128 v[34:37], v29 offset:8368
	s_waitcnt lgkmcnt(1)
	v_xor_b32_e32 v38, 0x80000000, v23
	v_pk_fma_f32 v[26:27], v[22:23], v[42:43], v[26:27] op_sel_hi:[1,0,1]
	v_mov_b32_e32 v39, v22
	v_pk_fma_f32 v[22:23], v[38:39], v[42:43], v[26:27] op_sel:[0,1,0]
	ds_read2_b64 v[38:41], v32 offset0:192 offset1:224
	ds_read_b128 v[46:49], v29 offset:8384
	ds_read_b128 v[50:53], v29 offset:8400
	v_xor_b32_e32 v26, 0x80000000, v25
	v_pk_fma_f32 v[22:23], v[24:25], v[44:45], v[22:23] op_sel_hi:[1,0,1]
	v_mov_b32_e32 v27, v24
	v_mov_b32_e32 v24, v45
	v_pk_fma_f32 v[22:23], v[26:27], v[24:25], v[22:23] op_sel_hi:[1,0,1]
	s_waitcnt lgkmcnt(2)
	v_xor_b32_e32 v24, 0x80000000, v39
	v_pk_fma_f32 v[22:23], v[38:39], v[34:35], v[22:23] op_sel_hi:[1,0,1]
	v_mov_b32_e32 v25, v38
	v_pk_fma_f32 v[26:27], v[24:25], v[34:35], v[22:23] op_sel:[0,1,0]
	ds_read2_b64 v[22:25], v33 offset1:32
	v_xor_b32_e32 v34, 0x80000000, v41
	v_pk_fma_f32 v[26:27], v[40:41], v[36:37], v[26:27] op_sel_hi:[1,0,1]
	v_mov_b32_e32 v35, v40
	v_mov_b32_e32 v36, v37
	v_pk_fma_f32 v[26:27], v[34:35], v[36:37], v[26:27] op_sel_hi:[1,0,1]
	s_waitcnt lgkmcnt(0)
	v_xor_b32_e32 v34, 0x80000000, v23
	v_pk_fma_f32 v[26:27], v[22:23], v[46:47], v[26:27] op_sel_hi:[1,0,1]
	v_mov_b32_e32 v35, v22
	v_pk_fma_f32 v[22:23], v[34:35], v[46:47], v[26:27] op_sel:[0,1,0]
	ds_read2_b64 v[34:37], v33 offset0:64 offset1:96
	v_xor_b32_e32 v26, 0x80000000, v25
	v_pk_fma_f32 v[22:23], v[24:25], v[48:49], v[22:23] op_sel_hi:[1,0,1]
	v_mov_b32_e32 v27, v24
	v_mov_b32_e32 v24, v49
	v_pk_fma_f32 v[22:23], v[26:27], v[24:25], v[22:23] op_sel_hi:[1,0,1]
	s_waitcnt lgkmcnt(0)
	v_xor_b32_e32 v24, 0x80000000, v35
	v_pk_fma_f32 v[22:23], v[34:35], v[50:51], v[22:23] op_sel_hi:[1,0,1]
	v_mov_b32_e32 v25, v34
	v_pk_fma_f32 v[26:27], v[24:25], v[50:51], v[22:23] op_sel:[0,1,0]
	ds_read_b128 v[22:25], v29 offset:8416
	ds_read_b128 v[38:41], v29 offset:8432
	ds_read2_b64 v[42:45], v33 offset0:128 offset1:160
	v_xor_b32_e32 v34, 0x80000000, v37
	v_pk_fma_f32 v[26:27], v[36:37], v[52:53], v[26:27] op_sel_hi:[1,0,1]
	v_mov_b32_e32 v35, v36
	v_mov_b32_e32 v36, v53
	v_pk_fma_f32 v[26:27], v[34:35], v[36:37], v[26:27] op_sel_hi:[1,0,1]
	s_waitcnt lgkmcnt(0)
	v_xor_b32_e32 v34, 0x80000000, v43
	v_pk_fma_f32 v[26:27], v[42:43], v[22:23], v[26:27] op_sel_hi:[1,0,1]
	v_mov_b32_e32 v35, v42
	v_pk_fma_f32 v[22:23], v[34:35], v[22:23], v[26:27] op_sel:[0,1,0]
	ds_read2_b64 v[34:37], v33 offset0:192 offset1:224
	v_xor_b32_e32 v26, 0x80000000, v45
	v_pk_fma_f32 v[22:23], v[44:45], v[24:25], v[22:23] op_sel_hi:[1,0,1]
	v_mov_b32_e32 v27, v44
	v_mov_b32_e32 v24, v25
	v_pk_fma_f32 v[22:23], v[26:27], v[24:25], v[22:23] op_sel_hi:[1,0,1]
	s_waitcnt lgkmcnt(0)
	v_xor_b32_e32 v24, 0x80000000, v35
	v_pk_fma_f32 v[22:23], v[34:35], v[38:39], v[22:23] op_sel_hi:[1,0,1]
	v_mov_b32_e32 v25, v34
	v_pk_fma_f32 v[22:23], v[24:25], v[38:39], v[22:23] op_sel:[0,1,0]
	v_xor_b32_e32 v24, 0x80000000, v37
	v_pk_fma_f32 v[22:23], v[36:37], v[40:41], v[22:23] op_sel_hi:[1,0,1]
	v_mov_b32_e32 v25, v36
	v_mov_b32_e32 v26, v41
	s_add_i32 s42, s42, 32
	v_pk_fma_f32 v[22:23], v[24:25], v[26:27], v[22:23] op_sel_hi:[1,0,1]
	s_cmp_ge_i32 s42, s15
	s_barrier
	s_cbranch_scc1 .LBB2_8
.LBB2_12:                               ;   Parent Loop BB2_6 Depth=1
                                        ;     Parent Loop BB2_9 Depth=2
                                        ; =>    This Inner Loop Header: Depth=3
	s_and_b64 vcc, exec, s[18:19]
	s_cbranch_vccz .LBB2_18
; %bb.13:                               ;   in Loop: Header=BB2_12 Depth=3
	s_mov_b64 s[30:31], 0
	s_mov_b64 s[28:29], 0
                                        ; implicit-def: $vgpr24_vgpr25
	s_and_saveexec_b64 s[34:35], s[0:1]
	s_cbranch_execz .LBB2_17
; %bb.14:                               ;   in Loop: Header=BB2_12 Depth=3
	v_add_u32_e32 v24, s42, v1
	v_cmp_gt_i32_e32 vcc, s15, v24
                                        ; implicit-def: $vgpr24_vgpr25
	s_and_saveexec_b64 s[36:37], vcc
	s_xor_b64 s[36:37], exec, s[36:37]
; %bb.15:                               ;   in Loop: Header=BB2_12 Depth=3
	v_add_u32_e32 v24, s42, v19
	v_ashrrev_i32_e32 v25, 31, v24
	v_mul_lo_u32 v26, s12, v25
	v_mul_lo_u32 v27, s13, v24
	v_mad_u64_u32 v[24:25], s[44:45], s12, v24, 0
	v_add3_u32 v25, v25, v26, v27
	s_mov_b64 s[28:29], exec
	v_lshl_add_u64 v[24:25], v[24:25], 3, v[6:7]
; %bb.16:                               ;   in Loop: Header=BB2_12 Depth=3
	s_or_b64 exec, exec, s[36:37]
	s_and_b64 s[28:29], s[28:29], exec
.LBB2_17:                               ;   in Loop: Header=BB2_12 Depth=3
	s_or_b64 exec, exec, s[34:35]
	s_and_b64 vcc, exec, s[30:31]
	s_cbranch_vccnz .LBB2_19
	s_branch .LBB2_24
.LBB2_18:                               ;   in Loop: Header=BB2_12 Depth=3
	s_mov_b64 s[28:29], 0
                                        ; implicit-def: $vgpr24_vgpr25
	s_cbranch_execz .LBB2_24
.LBB2_19:                               ;   in Loop: Header=BB2_12 Depth=3
                                        ; implicit-def: $vgpr24_vgpr25
	s_and_saveexec_b64 s[30:31], s[0:1]
	s_cbranch_execz .LBB2_23
; %bb.20:                               ;   in Loop: Header=BB2_12 Depth=3
	v_add_u32_e32 v24, s42, v1
	v_cmp_gt_i32_e32 vcc, s15, v24
	s_mov_b64 s[36:37], s[28:29]
                                        ; implicit-def: $vgpr24_vgpr25
	s_and_saveexec_b64 s[34:35], vcc
; %bb.21:                               ;   in Loop: Header=BB2_12 Depth=3
	v_add_u32_e32 v24, s42, v19
	v_ashrrev_i32_e32 v25, 31, v24
	v_lshl_add_u64 v[24:25], v[24:25], 3, v[8:9]
	s_or_b64 s[36:37], s[28:29], exec
; %bb.22:                               ;   in Loop: Header=BB2_12 Depth=3
	s_or_b64 exec, exec, s[34:35]
	s_andn2_b64 s[28:29], s[28:29], exec
	s_and_b64 s[34:35], s[36:37], exec
	s_or_b64 s[28:29], s[28:29], s[34:35]
.LBB2_23:                               ;   in Loop: Header=BB2_12 Depth=3
	s_or_b64 exec, exec, s[30:31]
.LBB2_24:                               ;   in Loop: Header=BB2_12 Depth=3
	v_mov_b32_e32 v26, 0
	v_mov_b32_e32 v27, 0
	s_and_saveexec_b64 s[30:31], s[28:29]
	s_cbranch_execnz .LBB2_32
; %bb.25:                               ;   in Loop: Header=BB2_12 Depth=3
	s_or_b64 exec, exec, s[30:31]
	s_and_b64 vcc, exec, s[20:21]
	ds_write_b64 v17, v[26:27]
	s_cbranch_vccz .LBB2_33
.LBB2_26:                               ;   in Loop: Header=BB2_12 Depth=3
	s_mov_b64 s[30:31], 0
	s_mov_b64 s[28:29], 0
                                        ; implicit-def: $vgpr24
	s_and_saveexec_b64 s[34:35], s[6:7]
	s_cbranch_execz .LBB2_30
; %bb.27:                               ;   in Loop: Header=BB2_12 Depth=3
	v_add_u32_e32 v25, s42, v0
	v_cmp_gt_i32_e32 vcc, s15, v25
                                        ; implicit-def: $vgpr24
	s_and_saveexec_b64 s[36:37], vcc
	s_xor_b64 s[36:37], exec, s[36:37]
; %bb.28:                               ;   in Loop: Header=BB2_12 Depth=3
	v_add_u32_e32 v24, s27, v25
	s_mov_b64 s[28:29], exec
	v_mad_u64_u32 v[24:25], s[44:45], v24, s14, v[20:21]
; %bb.29:                               ;   in Loop: Header=BB2_12 Depth=3
	s_or_b64 exec, exec, s[36:37]
	s_and_b64 s[28:29], s[28:29], exec
.LBB2_30:                               ;   in Loop: Header=BB2_12 Depth=3
	s_or_b64 exec, exec, s[34:35]
	s_and_b64 vcc, exec, s[30:31]
	s_cbranch_vccnz .LBB2_34
.LBB2_31:                               ;   in Loop: Header=BB2_12 Depth=3
	v_mov_b32_e32 v26, 0
	v_mov_b32_e32 v27, 0
	s_and_saveexec_b64 s[30:31], s[28:29]
	s_cbranch_execz .LBB2_11
	s_branch .LBB2_39
.LBB2_32:                               ;   in Loop: Header=BB2_12 Depth=3
	global_load_dwordx2 v[26:27], v[24:25], off
	s_or_b64 exec, exec, s[30:31]
	s_and_b64 vcc, exec, s[20:21]
	s_waitcnt vmcnt(0)
	ds_write_b64 v17, v[26:27]
	s_cbranch_vccnz .LBB2_26
.LBB2_33:                               ;   in Loop: Header=BB2_12 Depth=3
	s_mov_b64 s[28:29], 0
                                        ; implicit-def: $vgpr24
	s_cbranch_execz .LBB2_31
.LBB2_34:                               ;   in Loop: Header=BB2_12 Depth=3
                                        ; implicit-def: $vgpr24
	s_and_saveexec_b64 s[30:31], s[6:7]
	s_cbranch_execz .LBB2_38
; %bb.35:                               ;   in Loop: Header=BB2_12 Depth=3
	v_add_u32_e32 v24, s42, v0
	v_cmp_gt_i32_e32 vcc, s15, v24
	s_mov_b64 s[34:35], s[28:29]
                                        ; implicit-def: $vgpr24
	s_and_saveexec_b64 s[36:37], vcc
; %bb.36:                               ;   in Loop: Header=BB2_12 Depth=3
	v_add_u32_e32 v24, s42, v21
	s_or_b64 s[34:35], s[28:29], exec
; %bb.37:                               ;   in Loop: Header=BB2_12 Depth=3
	s_or_b64 exec, exec, s[36:37]
	s_andn2_b64 s[28:29], s[28:29], exec
	s_and_b64 s[34:35], s[34:35], exec
	s_or_b64 s[28:29], s[28:29], s[34:35]
.LBB2_38:                               ;   in Loop: Header=BB2_12 Depth=3
	s_or_b64 exec, exec, s[30:31]
	v_mov_b32_e32 v26, 0
	v_mov_b32_e32 v27, 0
	s_and_saveexec_b64 s[30:31], s[28:29]
	s_cbranch_execz .LBB2_11
.LBB2_39:                               ;   in Loop: Header=BB2_12 Depth=3
	v_ashrrev_i32_e32 v25, 31, v24
	v_lshl_add_u64 v[24:25], v[24:25], 3, s[10:11]
	global_load_dwordx2 v[26:27], v[24:25], off
	s_branch .LBB2_11
.LBB2_40:                               ;   in Loop: Header=BB2_6 Depth=1
	v_cmp_gt_i32_e32 vcc, s14, v20
	s_and_b64 s[26:27], s[22:23], vcc
	s_and_saveexec_b64 s[6:7], s[26:27]
	s_cbranch_execz .LBB2_5
; %bb.41:                               ;   in Loop: Header=BB2_6 Depth=1
	v_add_u32_e32 v20, s38, v20
	s_and_saveexec_b64 s[26:27], s[24:25]
	s_xor_b64 s[26:27], exec, s[26:27]
	s_cbranch_execz .LBB2_43
; %bb.42:                               ;   in Loop: Header=BB2_6 Depth=1
	v_ashrrev_i32_e32 v21, 31, v20
	v_lshl_add_u64 v[20:21], v[20:21], 3, v[10:11]
	global_load_dwordx2 v[24:25], v[20:21], off
	v_pk_mul_f32 v[26:27], v[22:23], v[12:13] op_sel:[1,0]
	s_nop 0
	v_pk_fma_f32 v[22:23], v[2:3], v[22:23], v[26:27] op_sel_hi:[1,0,1]
	s_waitcnt vmcnt(0)
	v_pk_fma_f32 v[22:23], v[4:5], v[24:25], v[22:23] op_sel_hi:[1,0,1]
	s_nop 0
	v_pk_fma_f32 v[22:23], v[14:15], v[24:25], v[22:23] op_sel:[0,1,0]
	global_store_dwordx2 v[20:21], v[22:23], off
                                        ; implicit-def: $vgpr22_vgpr23
                                        ; implicit-def: $vgpr20
.LBB2_43:                               ;   in Loop: Header=BB2_6 Depth=1
	s_andn2_saveexec_b64 s[26:27], s[26:27]
	s_cbranch_execz .LBB2_5
; %bb.44:                               ;   in Loop: Header=BB2_6 Depth=1
	v_pk_mul_f32 v[24:25], v[22:23], v[12:13] op_sel:[1,0]
	v_ashrrev_i32_e32 v21, 31, v20
	v_lshl_add_u64 v[20:21], v[20:21], 3, v[10:11]
	v_pk_fma_f32 v[22:23], v[2:3], v[22:23], v[24:25] op_sel_hi:[1,0,1]
	global_store_dwordx2 v[20:21], v[22:23], off
	s_branch .LBB2_5
.LBB2_45:
	s_endpgm
	.section	.rodata,"a",@progbits
	.p2align	6, 0x0
	.amdhsa_kernel _ZN9rocsparseL31gebsrmm_general_blockdim_kernelILi32ELi32E21rocsparse_complex_numIfEEEv20rocsparse_direction_20rocsparse_operation_iiNS_24const_host_device_scalarIT1_EEPKiS9_PKS6_iiSB_lS7_PS6_l21rocsparse_index_base_b
		.amdhsa_group_segment_fixed_size 16384
		.amdhsa_private_segment_fixed_size 0
		.amdhsa_kernarg_size 104
		.amdhsa_user_sgpr_count 2
		.amdhsa_user_sgpr_dispatch_ptr 0
		.amdhsa_user_sgpr_queue_ptr 0
		.amdhsa_user_sgpr_kernarg_segment_ptr 1
		.amdhsa_user_sgpr_dispatch_id 0
		.amdhsa_user_sgpr_kernarg_preload_length 0
		.amdhsa_user_sgpr_kernarg_preload_offset 0
		.amdhsa_user_sgpr_private_segment_size 0
		.amdhsa_uses_dynamic_stack 0
		.amdhsa_enable_private_segment 0
		.amdhsa_system_sgpr_workgroup_id_x 1
		.amdhsa_system_sgpr_workgroup_id_y 1
		.amdhsa_system_sgpr_workgroup_id_z 0
		.amdhsa_system_sgpr_workgroup_info 0
		.amdhsa_system_vgpr_workitem_id 1
		.amdhsa_next_free_vgpr 54
		.amdhsa_next_free_sgpr 46
		.amdhsa_accum_offset 56
		.amdhsa_reserve_vcc 1
		.amdhsa_float_round_mode_32 0
		.amdhsa_float_round_mode_16_64 0
		.amdhsa_float_denorm_mode_32 3
		.amdhsa_float_denorm_mode_16_64 3
		.amdhsa_dx10_clamp 1
		.amdhsa_ieee_mode 1
		.amdhsa_fp16_overflow 0
		.amdhsa_tg_split 0
		.amdhsa_exception_fp_ieee_invalid_op 0
		.amdhsa_exception_fp_denorm_src 0
		.amdhsa_exception_fp_ieee_div_zero 0
		.amdhsa_exception_fp_ieee_overflow 0
		.amdhsa_exception_fp_ieee_underflow 0
		.amdhsa_exception_fp_ieee_inexact 0
		.amdhsa_exception_int_div_zero 0
	.end_amdhsa_kernel
	.section	.text._ZN9rocsparseL31gebsrmm_general_blockdim_kernelILi32ELi32E21rocsparse_complex_numIfEEEv20rocsparse_direction_20rocsparse_operation_iiNS_24const_host_device_scalarIT1_EEPKiS9_PKS6_iiSB_lS7_PS6_l21rocsparse_index_base_b,"axG",@progbits,_ZN9rocsparseL31gebsrmm_general_blockdim_kernelILi32ELi32E21rocsparse_complex_numIfEEEv20rocsparse_direction_20rocsparse_operation_iiNS_24const_host_device_scalarIT1_EEPKiS9_PKS6_iiSB_lS7_PS6_l21rocsparse_index_base_b,comdat
.Lfunc_end2:
	.size	_ZN9rocsparseL31gebsrmm_general_blockdim_kernelILi32ELi32E21rocsparse_complex_numIfEEEv20rocsparse_direction_20rocsparse_operation_iiNS_24const_host_device_scalarIT1_EEPKiS9_PKS6_iiSB_lS7_PS6_l21rocsparse_index_base_b, .Lfunc_end2-_ZN9rocsparseL31gebsrmm_general_blockdim_kernelILi32ELi32E21rocsparse_complex_numIfEEEv20rocsparse_direction_20rocsparse_operation_iiNS_24const_host_device_scalarIT1_EEPKiS9_PKS6_iiSB_lS7_PS6_l21rocsparse_index_base_b
                                        ; -- End function
	.set _ZN9rocsparseL31gebsrmm_general_blockdim_kernelILi32ELi32E21rocsparse_complex_numIfEEEv20rocsparse_direction_20rocsparse_operation_iiNS_24const_host_device_scalarIT1_EEPKiS9_PKS6_iiSB_lS7_PS6_l21rocsparse_index_base_b.num_vgpr, 54
	.set _ZN9rocsparseL31gebsrmm_general_blockdim_kernelILi32ELi32E21rocsparse_complex_numIfEEEv20rocsparse_direction_20rocsparse_operation_iiNS_24const_host_device_scalarIT1_EEPKiS9_PKS6_iiSB_lS7_PS6_l21rocsparse_index_base_b.num_agpr, 0
	.set _ZN9rocsparseL31gebsrmm_general_blockdim_kernelILi32ELi32E21rocsparse_complex_numIfEEEv20rocsparse_direction_20rocsparse_operation_iiNS_24const_host_device_scalarIT1_EEPKiS9_PKS6_iiSB_lS7_PS6_l21rocsparse_index_base_b.numbered_sgpr, 46
	.set _ZN9rocsparseL31gebsrmm_general_blockdim_kernelILi32ELi32E21rocsparse_complex_numIfEEEv20rocsparse_direction_20rocsparse_operation_iiNS_24const_host_device_scalarIT1_EEPKiS9_PKS6_iiSB_lS7_PS6_l21rocsparse_index_base_b.num_named_barrier, 0
	.set _ZN9rocsparseL31gebsrmm_general_blockdim_kernelILi32ELi32E21rocsparse_complex_numIfEEEv20rocsparse_direction_20rocsparse_operation_iiNS_24const_host_device_scalarIT1_EEPKiS9_PKS6_iiSB_lS7_PS6_l21rocsparse_index_base_b.private_seg_size, 0
	.set _ZN9rocsparseL31gebsrmm_general_blockdim_kernelILi32ELi32E21rocsparse_complex_numIfEEEv20rocsparse_direction_20rocsparse_operation_iiNS_24const_host_device_scalarIT1_EEPKiS9_PKS6_iiSB_lS7_PS6_l21rocsparse_index_base_b.uses_vcc, 1
	.set _ZN9rocsparseL31gebsrmm_general_blockdim_kernelILi32ELi32E21rocsparse_complex_numIfEEEv20rocsparse_direction_20rocsparse_operation_iiNS_24const_host_device_scalarIT1_EEPKiS9_PKS6_iiSB_lS7_PS6_l21rocsparse_index_base_b.uses_flat_scratch, 0
	.set _ZN9rocsparseL31gebsrmm_general_blockdim_kernelILi32ELi32E21rocsparse_complex_numIfEEEv20rocsparse_direction_20rocsparse_operation_iiNS_24const_host_device_scalarIT1_EEPKiS9_PKS6_iiSB_lS7_PS6_l21rocsparse_index_base_b.has_dyn_sized_stack, 0
	.set _ZN9rocsparseL31gebsrmm_general_blockdim_kernelILi32ELi32E21rocsparse_complex_numIfEEEv20rocsparse_direction_20rocsparse_operation_iiNS_24const_host_device_scalarIT1_EEPKiS9_PKS6_iiSB_lS7_PS6_l21rocsparse_index_base_b.has_recursion, 0
	.set _ZN9rocsparseL31gebsrmm_general_blockdim_kernelILi32ELi32E21rocsparse_complex_numIfEEEv20rocsparse_direction_20rocsparse_operation_iiNS_24const_host_device_scalarIT1_EEPKiS9_PKS6_iiSB_lS7_PS6_l21rocsparse_index_base_b.has_indirect_call, 0
	.section	.AMDGPU.csdata,"",@progbits
; Kernel info:
; codeLenInByte = 2688
; TotalNumSgprs: 52
; NumVgprs: 54
; NumAgprs: 0
; TotalNumVgprs: 54
; ScratchSize: 0
; MemoryBound: 0
; FloatMode: 240
; IeeeMode: 1
; LDSByteSize: 16384 bytes/workgroup (compile time only)
; SGPRBlocks: 6
; VGPRBlocks: 6
; NumSGPRsForWavesPerEU: 52
; NumVGPRsForWavesPerEU: 54
; AccumOffset: 56
; Occupancy: 8
; WaveLimiterHint : 0
; COMPUTE_PGM_RSRC2:SCRATCH_EN: 0
; COMPUTE_PGM_RSRC2:USER_SGPR: 2
; COMPUTE_PGM_RSRC2:TRAP_HANDLER: 0
; COMPUTE_PGM_RSRC2:TGID_X_EN: 1
; COMPUTE_PGM_RSRC2:TGID_Y_EN: 1
; COMPUTE_PGM_RSRC2:TGID_Z_EN: 0
; COMPUTE_PGM_RSRC2:TIDIG_COMP_CNT: 1
; COMPUTE_PGM_RSRC3_GFX90A:ACCUM_OFFSET: 13
; COMPUTE_PGM_RSRC3_GFX90A:TG_SPLIT: 0
	.section	.text._ZN9rocsparseL31gebsrmm_general_blockdim_kernelILi32ELi32E21rocsparse_complex_numIdEEEv20rocsparse_direction_20rocsparse_operation_iiNS_24const_host_device_scalarIT1_EEPKiS9_PKS6_iiSB_lS7_PS6_l21rocsparse_index_base_b,"axG",@progbits,_ZN9rocsparseL31gebsrmm_general_blockdim_kernelILi32ELi32E21rocsparse_complex_numIdEEEv20rocsparse_direction_20rocsparse_operation_iiNS_24const_host_device_scalarIT1_EEPKiS9_PKS6_iiSB_lS7_PS6_l21rocsparse_index_base_b,comdat
	.globl	_ZN9rocsparseL31gebsrmm_general_blockdim_kernelILi32ELi32E21rocsparse_complex_numIdEEEv20rocsparse_direction_20rocsparse_operation_iiNS_24const_host_device_scalarIT1_EEPKiS9_PKS6_iiSB_lS7_PS6_l21rocsparse_index_base_b ; -- Begin function _ZN9rocsparseL31gebsrmm_general_blockdim_kernelILi32ELi32E21rocsparse_complex_numIdEEEv20rocsparse_direction_20rocsparse_operation_iiNS_24const_host_device_scalarIT1_EEPKiS9_PKS6_iiSB_lS7_PS6_l21rocsparse_index_base_b
	.p2align	8
	.type	_ZN9rocsparseL31gebsrmm_general_blockdim_kernelILi32ELi32E21rocsparse_complex_numIdEEEv20rocsparse_direction_20rocsparse_operation_iiNS_24const_host_device_scalarIT1_EEPKiS9_PKS6_iiSB_lS7_PS6_l21rocsparse_index_base_b,@function
_ZN9rocsparseL31gebsrmm_general_blockdim_kernelILi32ELi32E21rocsparse_complex_numIdEEEv20rocsparse_direction_20rocsparse_operation_iiNS_24const_host_device_scalarIT1_EEPKiS9_PKS6_iiSB_lS7_PS6_l21rocsparse_index_base_b: ; @_ZN9rocsparseL31gebsrmm_general_blockdim_kernelILi32ELi32E21rocsparse_complex_numIdEEEv20rocsparse_direction_20rocsparse_operation_iiNS_24const_host_device_scalarIT1_EEPKiS9_PKS6_iiSB_lS7_PS6_l21rocsparse_index_base_b
; %bb.0:
	s_load_dwordx2 s[4:5], s[0:1], 0x10
	s_load_dwordx4 s[8:11], s[0:1], 0x48
	s_load_dwordx2 s[16:17], s[0:1], 0x70
	s_add_u32 s6, s0, 16
	s_addc_u32 s7, s1, 0
	s_add_u32 s12, s0, 0x50
	s_addc_u32 s13, s1, 0
	s_waitcnt lgkmcnt(0)
	s_bitcmp1_b32 s17, 0
	s_cselect_b32 s5, s7, s5
	s_cselect_b32 s4, s6, s4
	v_mov_b32_e32 v2, s4
	v_mov_b32_e32 v3, s5
	flat_load_dwordx4 v[2:5], v[2:3]
	s_cselect_b32 s4, s13, s11
	s_cselect_b32 s5, s12, s10
	v_mov_b32_e32 v6, s5
	v_mov_b32_e32 v7, s4
	flat_load_dwordx4 v[6:9], v[6:7]
	s_waitcnt vmcnt(0) lgkmcnt(0)
	v_cmp_eq_f64_e32 vcc, 0, v[2:3]
	v_cmp_eq_f64_e64 s[4:5], 0, v[4:5]
	s_and_b64 s[10:11], vcc, s[4:5]
	s_mov_b64 s[4:5], -1
	s_and_saveexec_b64 s[6:7], s[10:11]
; %bb.1:
	v_cmp_neq_f64_e32 vcc, 1.0, v[6:7]
	v_cmp_neq_f64_e64 s[4:5], 0, v[8:9]
	s_or_b64 s[4:5], vcc, s[4:5]
	s_orn2_b64 s[4:5], s[4:5], exec
; %bb.2:
	s_or_b64 exec, exec, s[6:7]
	s_and_saveexec_b64 s[6:7], s[4:5]
	s_cbranch_execz .LBB3_47
; %bb.3:
	s_load_dwordx4 s[4:7], s[0:1], 0x0
	s_mov_b32 s17, 0
	s_mov_b32 s33, 0
	s_waitcnt lgkmcnt(0)
	s_cmp_lt_i32 s2, s6
	s_cselect_b64 s[22:23], -1, 0
	s_cmp_ge_i32 s2, s6
	s_cbranch_scc1 .LBB3_5
; %bb.4:
	s_load_dwordx2 s[10:11], s[0:1], 0x20
	s_mov_b32 s6, s3
	s_ashr_i32 s3, s2, 31
	s_lshl_b64 s[12:13], s[2:3], 2
	s_mov_b32 s3, s6
	s_waitcnt lgkmcnt(0)
	s_add_u32 s10, s10, s12
	s_addc_u32 s11, s11, s13
	s_load_dwordx2 s[12:13], s[10:11], 0x0
	s_waitcnt lgkmcnt(0)
	s_sub_i32 s17, s12, s16
	s_sub_i32 s33, s13, s16
.LBB3_5:
	s_load_dwordx2 s[10:11], s[0:1], 0x38
	s_waitcnt lgkmcnt(0)
	s_cmp_lt_i32 s10, 1
	s_cbranch_scc1 .LBB3_47
; %bb.6:
	s_load_dwordx4 s[28:31], s[0:1], 0x60
	s_load_dwordx4 s[12:15], s[0:1], 0x28
	s_load_dwordx2 s[20:21], s[0:1], 0x40
	v_and_b32_e32 v1, 0x3ff, v0
	v_bfe_u32 v0, v0, 10, 10
	v_lshl_add_u32 v10, s3, 5, v0
	v_ashrrev_i32_e32 v11, 31, v10
	s_cmp_lt_i32 s17, s33
	s_waitcnt lgkmcnt(0)
	v_mul_lo_u32 v14, s30, v11
	v_mul_lo_u32 v15, s31, v10
	v_mad_u64_u32 v[12:13], s[0:1], s30, v10, 0
	s_cselect_b64 s[26:27], -1, 0
	s_cmp_gt_i32 s11, 0
	v_add3_u32 v13, v13, v14, v15
	v_mul_lo_u32 v14, s8, v11
	v_mul_lo_u32 v15, s9, v10
	v_mad_u64_u32 v[16:17], s[0:1], s8, v10, 0
	s_cselect_b64 s[30:31], -1, 0
	s_cmpk_lg_i32 s5, 0x6f
	v_add3_u32 v17, v17, v14, v15
	s_mul_i32 s38, s10, s2
	s_cselect_b64 s[18:19], -1, 0
	s_cmp_lg_u32 s4, 0
	v_cmp_neq_f64_e32 vcc, 0, v[6:7]
	v_cmp_neq_f64_e64 s[2:3], 0, v[8:9]
	v_lshl_add_u64 v[14:15], v[10:11], 4, s[20:21]
	v_lshl_add_u64 v[16:17], v[16:17], 4, s[20:21]
	s_cselect_b64 s[20:21], -1, 0
	s_or_b64 s[24:25], vcc, s[2:3]
	s_mul_i32 s2, s17, s10
	v_cmp_gt_i32_e64 s[0:1], s7, v10
	v_add_u32_e32 v10, s2, v1
	v_lshlrev_b32_e32 v25, 4, v1
	v_mad_u64_u32 v[20:21], s[2:3], s11, v10, v[0:1]
	v_cndmask_b32_e64 v10, 0, 1, s[26:27]
	v_or_b32_e32 v11, 0x4000, v25
	v_lshlrev_b32_e32 v30, 9, v0
	v_cmp_ne_u32_e64 s[2:3], 1, v10
	v_cndmask_b32_e64 v10, 0, 1, s[30:31]
	s_mov_b32 s39, 0
	s_and_b64 s[22:23], s[22:23], s[0:1]
	v_lshl_add_u64 v[18:19], v[12:13], 4, s[28:29]
	s_lshl_b32 s40, s11, 5
	s_mul_i32 s41, s11, s10
	v_cmp_ne_u32_e64 s[4:5], 1, v10
	v_add_u32_e32 v21, v11, v30
	v_add_u32_e32 v31, v25, v30
	s_branch .LBB3_8
.LBB3_7:                                ;   in Loop: Header=BB3_8 Depth=1
	s_or_b64 exec, exec, s[6:7]
	s_add_i32 s39, s39, 32
	s_cmp_lt_i32 s39, s10
	v_add_u32_e32 v20, s40, v20
	s_cbranch_scc0 .LBB3_47
.LBB3_8:                                ; =>This Loop Header: Depth=1
                                        ;     Child Loop BB3_11 Depth 2
                                        ;       Child Loop BB3_14 Depth 3
	v_add_u32_e32 v24, s39, v1
	v_mov_b64_e32 v[22:23], 0
	s_and_b64 vcc, exec, s[2:3]
	v_cmp_gt_i32_e64 s[6:7], s10, v24
	v_mov_b64_e32 v[26:27], 0
	s_cbranch_vccnz .LBB3_42
; %bb.9:                                ;   in Loop: Header=BB3_8 Depth=1
	v_mov_b64_e32 v[22:23], 0
	v_mov_b32_e32 v32, v20
	s_mov_b32 s26, s17
	v_mov_b64_e32 v[26:27], 0
	s_branch .LBB3_11
.LBB3_10:                               ;   in Loop: Header=BB3_11 Depth=2
	s_add_i32 s26, s26, 1
	s_cmp_ge_i32 s26, s33
	v_add_u32_e32 v32, s41, v32
	s_cbranch_scc1 .LBB3_42
.LBB3_11:                               ;   Parent Loop BB3_8 Depth=1
                                        ; =>  This Loop Header: Depth=2
                                        ;       Child Loop BB3_14 Depth 3
	s_and_b64 vcc, exec, s[4:5]
	s_cbranch_vccnz .LBB3_10
; %bb.12:                               ;   in Loop: Header=BB3_11 Depth=2
	s_ashr_i32 s27, s26, 31
	s_lshl_b64 s[28:29], s[26:27], 2
	s_add_u32 s28, s12, s28
	s_addc_u32 s29, s13, s29
	s_load_dword s28, s[28:29], 0x0
	s_mul_i32 s27, s26, s11
	s_mov_b32 s42, 0
	s_waitcnt lgkmcnt(0)
	s_sub_i32 s28, s28, s16
	s_mul_i32 s28, s28, s11
	v_add_u32_e32 v33, s28, v1
	s_branch .LBB3_14
.LBB3_13:                               ;   in Loop: Header=BB3_14 Depth=3
	s_or_b64 exec, exec, s[30:31]
	s_waitcnt vmcnt(0)
	ds_write_b128 v31, v[10:13]
	s_waitcnt lgkmcnt(0)
	s_barrier
	ds_read_b128 v[10:13], v25
	ds_read_b128 v[34:37], v30 offset:16384
	ds_read_b128 v[38:41], v30 offset:16400
	;; [unrolled: 1-line block ×5, first 2 shown]
	s_waitcnt lgkmcnt(4)
	v_fmac_f64_e32 v[26:27], v[10:11], v[34:35]
	v_fmac_f64_e32 v[22:23], v[12:13], v[34:35]
	v_fma_f64 v[26:27], -v[12:13], v[36:37], v[26:27]
	v_fmac_f64_e32 v[22:23], v[10:11], v[36:37]
	ds_read_b128 v[10:13], v25 offset:1024
	s_waitcnt lgkmcnt(1)
	v_fmac_f64_e32 v[26:27], v[50:51], v[38:39]
	v_fma_f64 v[34:35], -v[52:53], v[40:41], v[26:27]
	ds_read_b128 v[26:29], v25 offset:1536
	v_fmac_f64_e32 v[22:23], v[52:53], v[38:39]
	s_waitcnt lgkmcnt(1)
	v_fmac_f64_e32 v[34:35], v[10:11], v[42:43]
	v_fmac_f64_e32 v[22:23], v[50:51], v[40:41]
	v_fma_f64 v[34:35], -v[12:13], v[44:45], v[34:35]
	v_fmac_f64_e32 v[22:23], v[12:13], v[42:43]
	s_waitcnt lgkmcnt(0)
	v_fmac_f64_e32 v[34:35], v[26:27], v[46:47]
	v_fmac_f64_e32 v[22:23], v[10:11], v[44:45]
	v_fma_f64 v[42:43], -v[28:29], v[48:49], v[34:35]
	ds_read_b128 v[10:13], v25 offset:2048
	ds_read_b128 v[34:37], v30 offset:16448
	v_fmac_f64_e32 v[22:23], v[28:29], v[46:47]
	v_fmac_f64_e32 v[22:23], v[26:27], v[48:49]
	ds_read_b128 v[26:29], v25 offset:2560
	ds_read_b128 v[38:41], v30 offset:16464
	s_add_i32 s42, s42, 32
	s_waitcnt lgkmcnt(2)
	v_fmac_f64_e32 v[42:43], v[10:11], v[34:35]
	v_fmac_f64_e32 v[22:23], v[12:13], v[34:35]
	v_fma_f64 v[42:43], -v[12:13], v[36:37], v[42:43]
	v_fmac_f64_e32 v[22:23], v[10:11], v[36:37]
	ds_read_b128 v[10:13], v25 offset:3072
	ds_read_b128 v[34:37], v30 offset:16480
	s_waitcnt lgkmcnt(2)
	v_fmac_f64_e32 v[42:43], v[26:27], v[38:39]
	v_fmac_f64_e32 v[22:23], v[28:29], v[38:39]
	v_fma_f64 v[42:43], -v[28:29], v[40:41], v[42:43]
	v_fmac_f64_e32 v[22:23], v[26:27], v[40:41]
	ds_read_b128 v[26:29], v25 offset:3584
	ds_read_b128 v[38:41], v30 offset:16496
	;; [unrolled: 7-line block ×26, first 2 shown]
	s_waitcnt lgkmcnt(2)
	v_fmac_f64_e32 v[46:47], v[10:11], v[34:35]
	v_fmac_f64_e32 v[22:23], v[12:13], v[34:35]
	v_fma_f64 v[26:27], -v[12:13], v[36:37], v[46:47]
	v_fmac_f64_e32 v[22:23], v[10:11], v[36:37]
	s_waitcnt lgkmcnt(0)
	v_fmac_f64_e32 v[26:27], v[38:39], v[42:43]
	v_fmac_f64_e32 v[22:23], v[40:41], v[42:43]
	v_fma_f64 v[26:27], -v[40:41], v[44:45], v[26:27]
	v_fmac_f64_e32 v[22:23], v[38:39], v[44:45]
	s_cmp_ge_i32 s42, s11
	s_barrier
	s_cbranch_scc1 .LBB3_10
.LBB3_14:                               ;   Parent Loop BB3_8 Depth=1
                                        ;     Parent Loop BB3_11 Depth=2
                                        ; =>    This Inner Loop Header: Depth=3
	s_and_b64 vcc, exec, s[18:19]
	s_cbranch_vccz .LBB3_20
; %bb.15:                               ;   in Loop: Header=BB3_14 Depth=3
	s_mov_b64 s[30:31], 0
	s_mov_b64 s[28:29], 0
                                        ; implicit-def: $vgpr28_vgpr29
	s_and_saveexec_b64 s[34:35], s[0:1]
	s_cbranch_execz .LBB3_19
; %bb.16:                               ;   in Loop: Header=BB3_14 Depth=3
	v_add_u32_e32 v10, s42, v1
	v_cmp_gt_i32_e32 vcc, s11, v10
                                        ; implicit-def: $vgpr28_vgpr29
	s_and_saveexec_b64 s[36:37], vcc
	s_xor_b64 s[36:37], exec, s[36:37]
; %bb.17:                               ;   in Loop: Header=BB3_14 Depth=3
	v_add_u32_e32 v10, s42, v33
	v_ashrrev_i32_e32 v11, 31, v10
	v_mul_lo_u32 v12, s8, v11
	v_mul_lo_u32 v13, s9, v10
	v_mad_u64_u32 v[10:11], s[44:45], s8, v10, 0
	v_add3_u32 v11, v11, v12, v13
	s_mov_b64 s[28:29], exec
	v_lshl_add_u64 v[28:29], v[10:11], 4, v[14:15]
; %bb.18:                               ;   in Loop: Header=BB3_14 Depth=3
	s_or_b64 exec, exec, s[36:37]
	s_and_b64 s[28:29], s[28:29], exec
.LBB3_19:                               ;   in Loop: Header=BB3_14 Depth=3
	s_or_b64 exec, exec, s[34:35]
	s_and_b64 vcc, exec, s[30:31]
	s_cbranch_vccnz .LBB3_21
	s_branch .LBB3_26
.LBB3_20:                               ;   in Loop: Header=BB3_14 Depth=3
	s_mov_b64 s[28:29], 0
                                        ; implicit-def: $vgpr28_vgpr29
	s_cbranch_execz .LBB3_26
.LBB3_21:                               ;   in Loop: Header=BB3_14 Depth=3
                                        ; implicit-def: $vgpr28_vgpr29
	s_and_saveexec_b64 s[30:31], s[0:1]
	s_cbranch_execz .LBB3_25
; %bb.22:                               ;   in Loop: Header=BB3_14 Depth=3
	v_add_u32_e32 v10, s42, v1
	v_cmp_gt_i32_e32 vcc, s11, v10
	s_mov_b64 s[36:37], s[28:29]
                                        ; implicit-def: $vgpr28_vgpr29
	s_and_saveexec_b64 s[34:35], vcc
; %bb.23:                               ;   in Loop: Header=BB3_14 Depth=3
	v_add_u32_e32 v10, s42, v33
	v_ashrrev_i32_e32 v11, 31, v10
	v_lshl_add_u64 v[28:29], v[10:11], 4, v[16:17]
	s_or_b64 s[36:37], s[28:29], exec
; %bb.24:                               ;   in Loop: Header=BB3_14 Depth=3
	s_or_b64 exec, exec, s[34:35]
	s_andn2_b64 s[28:29], s[28:29], exec
	s_and_b64 s[34:35], s[36:37], exec
	s_or_b64 s[28:29], s[28:29], s[34:35]
.LBB3_25:                               ;   in Loop: Header=BB3_14 Depth=3
	s_or_b64 exec, exec, s[30:31]
.LBB3_26:                               ;   in Loop: Header=BB3_14 Depth=3
	v_mov_b64_e32 v[10:11], 0
	v_mov_b64_e32 v[12:13], 0
	s_and_saveexec_b64 s[30:31], s[28:29]
	s_cbranch_execnz .LBB3_34
; %bb.27:                               ;   in Loop: Header=BB3_14 Depth=3
	s_or_b64 exec, exec, s[30:31]
	s_and_b64 vcc, exec, s[20:21]
	ds_write_b128 v21, v[10:13]
	s_cbranch_vccz .LBB3_35
.LBB3_28:                               ;   in Loop: Header=BB3_14 Depth=3
	s_mov_b64 s[30:31], 0
	s_mov_b64 s[28:29], 0
                                        ; implicit-def: $vgpr28
	s_and_saveexec_b64 s[34:35], s[6:7]
	s_cbranch_execz .LBB3_32
; %bb.29:                               ;   in Loop: Header=BB3_14 Depth=3
	v_add_u32_e32 v10, s42, v0
	v_cmp_gt_i32_e32 vcc, s11, v10
                                        ; implicit-def: $vgpr28
	s_and_saveexec_b64 s[36:37], vcc
	s_xor_b64 s[36:37], exec, s[36:37]
; %bb.30:                               ;   in Loop: Header=BB3_14 Depth=3
	v_add_u32_e32 v10, s27, v10
	s_mov_b64 s[28:29], exec
	v_mad_u64_u32 v[28:29], s[44:45], v10, s10, v[24:25]
; %bb.31:                               ;   in Loop: Header=BB3_14 Depth=3
	s_or_b64 exec, exec, s[36:37]
	s_and_b64 s[28:29], s[28:29], exec
.LBB3_32:                               ;   in Loop: Header=BB3_14 Depth=3
	s_or_b64 exec, exec, s[34:35]
	s_and_b64 vcc, exec, s[30:31]
	s_cbranch_vccnz .LBB3_36
.LBB3_33:                               ;   in Loop: Header=BB3_14 Depth=3
	v_mov_b64_e32 v[10:11], 0
	v_mov_b64_e32 v[12:13], 0
	s_and_saveexec_b64 s[30:31], s[28:29]
	s_cbranch_execz .LBB3_13
	s_branch .LBB3_41
.LBB3_34:                               ;   in Loop: Header=BB3_14 Depth=3
	global_load_dwordx4 v[10:13], v[28:29], off
	s_or_b64 exec, exec, s[30:31]
	s_and_b64 vcc, exec, s[20:21]
	s_waitcnt vmcnt(0)
	ds_write_b128 v21, v[10:13]
	s_cbranch_vccnz .LBB3_28
.LBB3_35:                               ;   in Loop: Header=BB3_14 Depth=3
	s_mov_b64 s[28:29], 0
                                        ; implicit-def: $vgpr28
	s_cbranch_execz .LBB3_33
.LBB3_36:                               ;   in Loop: Header=BB3_14 Depth=3
                                        ; implicit-def: $vgpr28
	s_and_saveexec_b64 s[30:31], s[6:7]
	s_cbranch_execz .LBB3_40
; %bb.37:                               ;   in Loop: Header=BB3_14 Depth=3
	v_add_u32_e32 v10, s42, v0
	v_cmp_gt_i32_e32 vcc, s11, v10
	s_mov_b64 s[34:35], s[28:29]
                                        ; implicit-def: $vgpr28
	s_and_saveexec_b64 s[36:37], vcc
; %bb.38:                               ;   in Loop: Header=BB3_14 Depth=3
	v_add_u32_e32 v28, s42, v32
	s_or_b64 s[34:35], s[28:29], exec
; %bb.39:                               ;   in Loop: Header=BB3_14 Depth=3
	s_or_b64 exec, exec, s[36:37]
	s_andn2_b64 s[28:29], s[28:29], exec
	s_and_b64 s[34:35], s[34:35], exec
	s_or_b64 s[28:29], s[28:29], s[34:35]
.LBB3_40:                               ;   in Loop: Header=BB3_14 Depth=3
	s_or_b64 exec, exec, s[30:31]
	v_mov_b64_e32 v[10:11], 0
	v_mov_b64_e32 v[12:13], 0
	s_and_saveexec_b64 s[30:31], s[28:29]
	s_cbranch_execz .LBB3_13
.LBB3_41:                               ;   in Loop: Header=BB3_14 Depth=3
	v_ashrrev_i32_e32 v29, 31, v28
	v_lshl_add_u64 v[10:11], v[28:29], 4, s[14:15]
	global_load_dwordx4 v[10:13], v[10:11], off
	s_branch .LBB3_13
.LBB3_42:                               ;   in Loop: Header=BB3_8 Depth=1
	v_cmp_gt_i32_e32 vcc, s10, v24
	s_and_b64 s[26:27], s[22:23], vcc
	s_and_saveexec_b64 s[6:7], s[26:27]
	s_cbranch_execz .LBB3_7
; %bb.43:                               ;   in Loop: Header=BB3_8 Depth=1
	v_add_u32_e32 v10, s38, v24
	s_and_saveexec_b64 s[26:27], s[24:25]
	s_xor_b64 s[26:27], exec, s[26:27]
	s_cbranch_execz .LBB3_45
; %bb.44:                               ;   in Loop: Header=BB3_8 Depth=1
	v_ashrrev_i32_e32 v11, 31, v10
	v_lshl_add_u64 v[32:33], v[10:11], 4, v[18:19]
	global_load_dwordx4 v[10:13], v[32:33], off
	v_mul_f64 v[34:35], v[22:23], -v[4:5]
	v_mul_f64 v[28:29], v[2:3], v[22:23]
	v_fmac_f64_e32 v[34:35], v[2:3], v[26:27]
	v_fmac_f64_e32 v[28:29], v[4:5], v[26:27]
                                        ; implicit-def: $vgpr22_vgpr23
	s_waitcnt vmcnt(0)
	v_fmac_f64_e32 v[34:35], v[6:7], v[10:11]
	v_fmac_f64_e32 v[28:29], v[8:9], v[10:11]
	v_fma_f64 v[26:27], -v[8:9], v[12:13], v[34:35]
	v_fmac_f64_e32 v[28:29], v[6:7], v[12:13]
	global_store_dwordx4 v[32:33], v[26:29], off
                                        ; implicit-def: $vgpr26_vgpr27
                                        ; implicit-def: $vgpr10
.LBB3_45:                               ;   in Loop: Header=BB3_8 Depth=1
	s_andn2_saveexec_b64 s[26:27], s[26:27]
	s_cbranch_execz .LBB3_7
; %bb.46:                               ;   in Loop: Header=BB3_8 Depth=1
	v_mul_f64 v[32:33], v[22:23], -v[4:5]
	v_mul_f64 v[34:35], v[2:3], v[22:23]
	v_ashrrev_i32_e32 v11, 31, v10
	v_fmac_f64_e32 v[32:33], v[2:3], v[26:27]
	v_fmac_f64_e32 v[34:35], v[4:5], v[26:27]
	v_lshl_add_u64 v[10:11], v[10:11], 4, v[18:19]
	global_store_dwordx4 v[10:11], v[32:35], off
	s_branch .LBB3_7
.LBB3_47:
	s_endpgm
	.section	.rodata,"a",@progbits
	.p2align	6, 0x0
	.amdhsa_kernel _ZN9rocsparseL31gebsrmm_general_blockdim_kernelILi32ELi32E21rocsparse_complex_numIdEEEv20rocsparse_direction_20rocsparse_operation_iiNS_24const_host_device_scalarIT1_EEPKiS9_PKS6_iiSB_lS7_PS6_l21rocsparse_index_base_b
		.amdhsa_group_segment_fixed_size 32768
		.amdhsa_private_segment_fixed_size 0
		.amdhsa_kernarg_size 120
		.amdhsa_user_sgpr_count 2
		.amdhsa_user_sgpr_dispatch_ptr 0
		.amdhsa_user_sgpr_queue_ptr 0
		.amdhsa_user_sgpr_kernarg_segment_ptr 1
		.amdhsa_user_sgpr_dispatch_id 0
		.amdhsa_user_sgpr_kernarg_preload_length 0
		.amdhsa_user_sgpr_kernarg_preload_offset 0
		.amdhsa_user_sgpr_private_segment_size 0
		.amdhsa_uses_dynamic_stack 0
		.amdhsa_enable_private_segment 0
		.amdhsa_system_sgpr_workgroup_id_x 1
		.amdhsa_system_sgpr_workgroup_id_y 1
		.amdhsa_system_sgpr_workgroup_id_z 0
		.amdhsa_system_sgpr_workgroup_info 0
		.amdhsa_system_vgpr_workitem_id 1
		.amdhsa_next_free_vgpr 54
		.amdhsa_next_free_sgpr 46
		.amdhsa_accum_offset 56
		.amdhsa_reserve_vcc 1
		.amdhsa_float_round_mode_32 0
		.amdhsa_float_round_mode_16_64 0
		.amdhsa_float_denorm_mode_32 3
		.amdhsa_float_denorm_mode_16_64 3
		.amdhsa_dx10_clamp 1
		.amdhsa_ieee_mode 1
		.amdhsa_fp16_overflow 0
		.amdhsa_tg_split 0
		.amdhsa_exception_fp_ieee_invalid_op 0
		.amdhsa_exception_fp_denorm_src 0
		.amdhsa_exception_fp_ieee_div_zero 0
		.amdhsa_exception_fp_ieee_overflow 0
		.amdhsa_exception_fp_ieee_underflow 0
		.amdhsa_exception_fp_ieee_inexact 0
		.amdhsa_exception_int_div_zero 0
	.end_amdhsa_kernel
	.section	.text._ZN9rocsparseL31gebsrmm_general_blockdim_kernelILi32ELi32E21rocsparse_complex_numIdEEEv20rocsparse_direction_20rocsparse_operation_iiNS_24const_host_device_scalarIT1_EEPKiS9_PKS6_iiSB_lS7_PS6_l21rocsparse_index_base_b,"axG",@progbits,_ZN9rocsparseL31gebsrmm_general_blockdim_kernelILi32ELi32E21rocsparse_complex_numIdEEEv20rocsparse_direction_20rocsparse_operation_iiNS_24const_host_device_scalarIT1_EEPKiS9_PKS6_iiSB_lS7_PS6_l21rocsparse_index_base_b,comdat
.Lfunc_end3:
	.size	_ZN9rocsparseL31gebsrmm_general_blockdim_kernelILi32ELi32E21rocsparse_complex_numIdEEEv20rocsparse_direction_20rocsparse_operation_iiNS_24const_host_device_scalarIT1_EEPKiS9_PKS6_iiSB_lS7_PS6_l21rocsparse_index_base_b, .Lfunc_end3-_ZN9rocsparseL31gebsrmm_general_blockdim_kernelILi32ELi32E21rocsparse_complex_numIdEEEv20rocsparse_direction_20rocsparse_operation_iiNS_24const_host_device_scalarIT1_EEPKiS9_PKS6_iiSB_lS7_PS6_l21rocsparse_index_base_b
                                        ; -- End function
	.set _ZN9rocsparseL31gebsrmm_general_blockdim_kernelILi32ELi32E21rocsparse_complex_numIdEEEv20rocsparse_direction_20rocsparse_operation_iiNS_24const_host_device_scalarIT1_EEPKiS9_PKS6_iiSB_lS7_PS6_l21rocsparse_index_base_b.num_vgpr, 54
	.set _ZN9rocsparseL31gebsrmm_general_blockdim_kernelILi32ELi32E21rocsparse_complex_numIdEEEv20rocsparse_direction_20rocsparse_operation_iiNS_24const_host_device_scalarIT1_EEPKiS9_PKS6_iiSB_lS7_PS6_l21rocsparse_index_base_b.num_agpr, 0
	.set _ZN9rocsparseL31gebsrmm_general_blockdim_kernelILi32ELi32E21rocsparse_complex_numIdEEEv20rocsparse_direction_20rocsparse_operation_iiNS_24const_host_device_scalarIT1_EEPKiS9_PKS6_iiSB_lS7_PS6_l21rocsparse_index_base_b.numbered_sgpr, 46
	.set _ZN9rocsparseL31gebsrmm_general_blockdim_kernelILi32ELi32E21rocsparse_complex_numIdEEEv20rocsparse_direction_20rocsparse_operation_iiNS_24const_host_device_scalarIT1_EEPKiS9_PKS6_iiSB_lS7_PS6_l21rocsparse_index_base_b.num_named_barrier, 0
	.set _ZN9rocsparseL31gebsrmm_general_blockdim_kernelILi32ELi32E21rocsparse_complex_numIdEEEv20rocsparse_direction_20rocsparse_operation_iiNS_24const_host_device_scalarIT1_EEPKiS9_PKS6_iiSB_lS7_PS6_l21rocsparse_index_base_b.private_seg_size, 0
	.set _ZN9rocsparseL31gebsrmm_general_blockdim_kernelILi32ELi32E21rocsparse_complex_numIdEEEv20rocsparse_direction_20rocsparse_operation_iiNS_24const_host_device_scalarIT1_EEPKiS9_PKS6_iiSB_lS7_PS6_l21rocsparse_index_base_b.uses_vcc, 1
	.set _ZN9rocsparseL31gebsrmm_general_blockdim_kernelILi32ELi32E21rocsparse_complex_numIdEEEv20rocsparse_direction_20rocsparse_operation_iiNS_24const_host_device_scalarIT1_EEPKiS9_PKS6_iiSB_lS7_PS6_l21rocsparse_index_base_b.uses_flat_scratch, 0
	.set _ZN9rocsparseL31gebsrmm_general_blockdim_kernelILi32ELi32E21rocsparse_complex_numIdEEEv20rocsparse_direction_20rocsparse_operation_iiNS_24const_host_device_scalarIT1_EEPKiS9_PKS6_iiSB_lS7_PS6_l21rocsparse_index_base_b.has_dyn_sized_stack, 0
	.set _ZN9rocsparseL31gebsrmm_general_blockdim_kernelILi32ELi32E21rocsparse_complex_numIdEEEv20rocsparse_direction_20rocsparse_operation_iiNS_24const_host_device_scalarIT1_EEPKiS9_PKS6_iiSB_lS7_PS6_l21rocsparse_index_base_b.has_recursion, 0
	.set _ZN9rocsparseL31gebsrmm_general_blockdim_kernelILi32ELi32E21rocsparse_complex_numIdEEEv20rocsparse_direction_20rocsparse_operation_iiNS_24const_host_device_scalarIT1_EEPKiS9_PKS6_iiSB_lS7_PS6_l21rocsparse_index_base_b.has_indirect_call, 0
	.section	.AMDGPU.csdata,"",@progbits
; Kernel info:
; codeLenInByte = 2644
; TotalNumSgprs: 52
; NumVgprs: 54
; NumAgprs: 0
; TotalNumVgprs: 54
; ScratchSize: 0
; MemoryBound: 1
; FloatMode: 240
; IeeeMode: 1
; LDSByteSize: 32768 bytes/workgroup (compile time only)
; SGPRBlocks: 6
; VGPRBlocks: 6
; NumSGPRsForWavesPerEU: 52
; NumVGPRsForWavesPerEU: 54
; AccumOffset: 56
; Occupancy: 8
; WaveLimiterHint : 0
; COMPUTE_PGM_RSRC2:SCRATCH_EN: 0
; COMPUTE_PGM_RSRC2:USER_SGPR: 2
; COMPUTE_PGM_RSRC2:TRAP_HANDLER: 0
; COMPUTE_PGM_RSRC2:TGID_X_EN: 1
; COMPUTE_PGM_RSRC2:TGID_Y_EN: 1
; COMPUTE_PGM_RSRC2:TGID_Z_EN: 0
; COMPUTE_PGM_RSRC2:TIDIG_COMP_CNT: 1
; COMPUTE_PGM_RSRC3_GFX90A:ACCUM_OFFSET: 13
; COMPUTE_PGM_RSRC3_GFX90A:TG_SPLIT: 0
	.section	.AMDGPU.gpr_maximums,"",@progbits
	.set amdgpu.max_num_vgpr, 0
	.set amdgpu.max_num_agpr, 0
	.set amdgpu.max_num_sgpr, 0
	.section	.AMDGPU.csdata,"",@progbits
	.type	__hip_cuid_27ba2548755f3b00,@object ; @__hip_cuid_27ba2548755f3b00
	.section	.bss,"aw",@nobits
	.globl	__hip_cuid_27ba2548755f3b00
__hip_cuid_27ba2548755f3b00:
	.byte	0                               ; 0x0
	.size	__hip_cuid_27ba2548755f3b00, 1

	.ident	"AMD clang version 22.0.0git (https://github.com/RadeonOpenCompute/llvm-project roc-7.2.4 26084 f58b06dce1f9c15707c5f808fd002e18c2accf7e)"
	.section	".note.GNU-stack","",@progbits
	.addrsig
	.addrsig_sym __hip_cuid_27ba2548755f3b00
	.amdgpu_metadata
---
amdhsa.kernels:
  - .agpr_count:     0
    .args:
      - .offset:         0
        .size:           4
        .value_kind:     by_value
      - .offset:         4
        .size:           4
        .value_kind:     by_value
      - .offset:         8
        .size:           4
        .value_kind:     by_value
      - .offset:         12
        .size:           4
        .value_kind:     by_value
      - .offset:         16
        .size:           8
        .value_kind:     by_value
      - .actual_access:  read_only
        .address_space:  global
        .offset:         24
        .size:           8
        .value_kind:     global_buffer
      - .actual_access:  read_only
        .address_space:  global
        .offset:         32
        .size:           8
        .value_kind:     global_buffer
      - .actual_access:  read_only
        .address_space:  global
        .offset:         40
        .size:           8
        .value_kind:     global_buffer
      - .offset:         48
        .size:           4
        .value_kind:     by_value
      - .offset:         52
        .size:           4
        .value_kind:     by_value
      - .actual_access:  read_only
        .address_space:  global
        .offset:         56
        .size:           8
        .value_kind:     global_buffer
      - .offset:         64
        .size:           8
        .value_kind:     by_value
      - .offset:         72
        .size:           8
        .value_kind:     by_value
      - .address_space:  global
        .offset:         80
        .size:           8
        .value_kind:     global_buffer
      - .offset:         88
        .size:           8
        .value_kind:     by_value
      - .offset:         96
        .size:           4
        .value_kind:     by_value
      - .offset:         100
        .size:           1
        .value_kind:     by_value
    .group_segment_fixed_size: 8192
    .kernarg_segment_align: 8
    .kernarg_segment_size: 104
    .language:       OpenCL C
    .language_version:
      - 2
      - 0
    .max_flat_workgroup_size: 1024
    .name:           _ZN9rocsparseL31gebsrmm_general_blockdim_kernelILi32ELi32EfEEv20rocsparse_direction_20rocsparse_operation_iiNS_24const_host_device_scalarIT1_EEPKiS7_PKS4_iiS9_lS5_PS4_l21rocsparse_index_base_b
    .private_segment_fixed_size: 0
    .sgpr_count:     54
    .sgpr_spill_count: 0
    .symbol:         _ZN9rocsparseL31gebsrmm_general_blockdim_kernelILi32ELi32EfEEv20rocsparse_direction_20rocsparse_operation_iiNS_24const_host_device_scalarIT1_EEPKiS7_PKS4_iiS9_lS5_PS4_l21rocsparse_index_base_b.kd
    .uniform_work_group_size: 1
    .uses_dynamic_stack: false
    .vgpr_count:     42
    .vgpr_spill_count: 0
    .wavefront_size: 64
  - .agpr_count:     0
    .args:
      - .offset:         0
        .size:           4
        .value_kind:     by_value
      - .offset:         4
        .size:           4
        .value_kind:     by_value
      - .offset:         8
        .size:           4
        .value_kind:     by_value
      - .offset:         12
        .size:           4
        .value_kind:     by_value
      - .offset:         16
        .size:           8
        .value_kind:     by_value
      - .actual_access:  read_only
        .address_space:  global
        .offset:         24
        .size:           8
        .value_kind:     global_buffer
      - .actual_access:  read_only
        .address_space:  global
        .offset:         32
        .size:           8
        .value_kind:     global_buffer
      - .actual_access:  read_only
        .address_space:  global
        .offset:         40
        .size:           8
        .value_kind:     global_buffer
      - .offset:         48
        .size:           4
        .value_kind:     by_value
      - .offset:         52
        .size:           4
        .value_kind:     by_value
      - .actual_access:  read_only
        .address_space:  global
        .offset:         56
        .size:           8
        .value_kind:     global_buffer
      - .offset:         64
        .size:           8
        .value_kind:     by_value
      - .offset:         72
        .size:           8
        .value_kind:     by_value
      - .address_space:  global
        .offset:         80
        .size:           8
        .value_kind:     global_buffer
      - .offset:         88
        .size:           8
        .value_kind:     by_value
      - .offset:         96
        .size:           4
        .value_kind:     by_value
      - .offset:         100
        .size:           1
        .value_kind:     by_value
    .group_segment_fixed_size: 16384
    .kernarg_segment_align: 8
    .kernarg_segment_size: 104
    .language:       OpenCL C
    .language_version:
      - 2
      - 0
    .max_flat_workgroup_size: 1024
    .name:           _ZN9rocsparseL31gebsrmm_general_blockdim_kernelILi32ELi32EdEEv20rocsparse_direction_20rocsparse_operation_iiNS_24const_host_device_scalarIT1_EEPKiS7_PKS4_iiS9_lS5_PS4_l21rocsparse_index_base_b
    .private_segment_fixed_size: 0
    .sgpr_count:     52
    .sgpr_spill_count: 0
    .symbol:         _ZN9rocsparseL31gebsrmm_general_blockdim_kernelILi32ELi32EdEEv20rocsparse_direction_20rocsparse_operation_iiNS_24const_host_device_scalarIT1_EEPKiS7_PKS4_iiS9_lS5_PS4_l21rocsparse_index_base_b.kd
    .uniform_work_group_size: 1
    .uses_dynamic_stack: false
    .vgpr_count:     54
    .vgpr_spill_count: 0
    .wavefront_size: 64
  - .agpr_count:     0
    .args:
      - .offset:         0
        .size:           4
        .value_kind:     by_value
      - .offset:         4
        .size:           4
        .value_kind:     by_value
      - .offset:         8
        .size:           4
        .value_kind:     by_value
      - .offset:         12
        .size:           4
        .value_kind:     by_value
      - .offset:         16
        .size:           8
        .value_kind:     by_value
      - .actual_access:  read_only
        .address_space:  global
        .offset:         24
        .size:           8
        .value_kind:     global_buffer
      - .actual_access:  read_only
        .address_space:  global
        .offset:         32
        .size:           8
        .value_kind:     global_buffer
      - .actual_access:  read_only
        .address_space:  global
        .offset:         40
        .size:           8
        .value_kind:     global_buffer
      - .offset:         48
        .size:           4
        .value_kind:     by_value
      - .offset:         52
        .size:           4
        .value_kind:     by_value
      - .actual_access:  read_only
        .address_space:  global
        .offset:         56
        .size:           8
        .value_kind:     global_buffer
      - .offset:         64
        .size:           8
        .value_kind:     by_value
      - .offset:         72
        .size:           8
        .value_kind:     by_value
      - .address_space:  global
        .offset:         80
        .size:           8
        .value_kind:     global_buffer
      - .offset:         88
        .size:           8
        .value_kind:     by_value
      - .offset:         96
        .size:           4
        .value_kind:     by_value
      - .offset:         100
        .size:           1
        .value_kind:     by_value
    .group_segment_fixed_size: 16384
    .kernarg_segment_align: 8
    .kernarg_segment_size: 104
    .language:       OpenCL C
    .language_version:
      - 2
      - 0
    .max_flat_workgroup_size: 1024
    .name:           _ZN9rocsparseL31gebsrmm_general_blockdim_kernelILi32ELi32E21rocsparse_complex_numIfEEEv20rocsparse_direction_20rocsparse_operation_iiNS_24const_host_device_scalarIT1_EEPKiS9_PKS6_iiSB_lS7_PS6_l21rocsparse_index_base_b
    .private_segment_fixed_size: 0
    .sgpr_count:     52
    .sgpr_spill_count: 0
    .symbol:         _ZN9rocsparseL31gebsrmm_general_blockdim_kernelILi32ELi32E21rocsparse_complex_numIfEEEv20rocsparse_direction_20rocsparse_operation_iiNS_24const_host_device_scalarIT1_EEPKiS9_PKS6_iiSB_lS7_PS6_l21rocsparse_index_base_b.kd
    .uniform_work_group_size: 1
    .uses_dynamic_stack: false
    .vgpr_count:     54
    .vgpr_spill_count: 0
    .wavefront_size: 64
  - .agpr_count:     0
    .args:
      - .offset:         0
        .size:           4
        .value_kind:     by_value
      - .offset:         4
        .size:           4
        .value_kind:     by_value
      - .offset:         8
        .size:           4
        .value_kind:     by_value
      - .offset:         12
        .size:           4
        .value_kind:     by_value
      - .offset:         16
        .size:           16
        .value_kind:     by_value
      - .actual_access:  read_only
        .address_space:  global
        .offset:         32
        .size:           8
        .value_kind:     global_buffer
      - .actual_access:  read_only
        .address_space:  global
        .offset:         40
        .size:           8
        .value_kind:     global_buffer
      - .actual_access:  read_only
        .address_space:  global
        .offset:         48
        .size:           8
        .value_kind:     global_buffer
      - .offset:         56
        .size:           4
        .value_kind:     by_value
      - .offset:         60
        .size:           4
        .value_kind:     by_value
      - .actual_access:  read_only
        .address_space:  global
        .offset:         64
        .size:           8
        .value_kind:     global_buffer
      - .offset:         72
        .size:           8
        .value_kind:     by_value
      - .offset:         80
        .size:           16
        .value_kind:     by_value
      - .address_space:  global
        .offset:         96
        .size:           8
        .value_kind:     global_buffer
      - .offset:         104
        .size:           8
        .value_kind:     by_value
      - .offset:         112
        .size:           4
        .value_kind:     by_value
      - .offset:         116
        .size:           1
        .value_kind:     by_value
    .group_segment_fixed_size: 32768
    .kernarg_segment_align: 8
    .kernarg_segment_size: 120
    .language:       OpenCL C
    .language_version:
      - 2
      - 0
    .max_flat_workgroup_size: 1024
    .name:           _ZN9rocsparseL31gebsrmm_general_blockdim_kernelILi32ELi32E21rocsparse_complex_numIdEEEv20rocsparse_direction_20rocsparse_operation_iiNS_24const_host_device_scalarIT1_EEPKiS9_PKS6_iiSB_lS7_PS6_l21rocsparse_index_base_b
    .private_segment_fixed_size: 0
    .sgpr_count:     52
    .sgpr_spill_count: 0
    .symbol:         _ZN9rocsparseL31gebsrmm_general_blockdim_kernelILi32ELi32E21rocsparse_complex_numIdEEEv20rocsparse_direction_20rocsparse_operation_iiNS_24const_host_device_scalarIT1_EEPKiS9_PKS6_iiSB_lS7_PS6_l21rocsparse_index_base_b.kd
    .uniform_work_group_size: 1
    .uses_dynamic_stack: false
    .vgpr_count:     54
    .vgpr_spill_count: 0
    .wavefront_size: 64
amdhsa.target:   amdgcn-amd-amdhsa--gfx950
amdhsa.version:
  - 1
  - 2
...

	.end_amdgpu_metadata
